;; amdgpu-corpus repo=ROCm/rocFFT kind=compiled arch=gfx1201 opt=O3
	.text
	.amdgcn_target "amdgcn-amd-amdhsa--gfx1201"
	.amdhsa_code_object_version 6
	.protected	fft_rtc_fwd_len168_factors_2_6_7_2_wgs_140_tpt_14_dim2_sp_ip_CI_sbcc_twdbase8_3step_dirReg ; -- Begin function fft_rtc_fwd_len168_factors_2_6_7_2_wgs_140_tpt_14_dim2_sp_ip_CI_sbcc_twdbase8_3step_dirReg
	.globl	fft_rtc_fwd_len168_factors_2_6_7_2_wgs_140_tpt_14_dim2_sp_ip_CI_sbcc_twdbase8_3step_dirReg
	.p2align	8
	.type	fft_rtc_fwd_len168_factors_2_6_7_2_wgs_140_tpt_14_dim2_sp_ip_CI_sbcc_twdbase8_3step_dirReg,@function
fft_rtc_fwd_len168_factors_2_6_7_2_wgs_140_tpt_14_dim2_sp_ip_CI_sbcc_twdbase8_3step_dirReg: ; @fft_rtc_fwd_len168_factors_2_6_7_2_wgs_140_tpt_14_dim2_sp_ip_CI_sbcc_twdbase8_3step_dirReg
; %bb.0:
	s_load_b128 s[4:7], s[0:1], 0x10
	s_mov_b32 s9, 0
	s_mov_b32 s2, 0x99986000
	s_movk_i32 s3, 0x59
	s_mov_b32 s8, s9
	s_mov_b32 s17, -1
	s_add_nc_u64 s[2:3], s[8:9], s[2:3]
	s_delay_alu instid0(SALU_CYCLE_1) | instskip(NEXT) | instid1(SALU_CYCLE_1)
	s_add_co_i32 s3, s3, 0x19999940
	s_mul_u64 s[10:11], s[2:3], -10
	s_delay_alu instid0(SALU_CYCLE_1)
	s_mul_hi_u32 s8, s2, s10
	s_mul_i32 s15, s3, s10
	s_mul_hi_u32 s14, s3, s10
	s_mul_hi_u32 s16, s3, s11
	s_mul_i32 s10, s3, s11
	s_wait_kmcnt 0x0
	s_load_b64 s[12:13], s[4:5], 0x8
	s_mul_hi_u32 s5, s2, s11
	s_mul_i32 s4, s2, s11
	s_delay_alu instid0(SALU_CYCLE_1) | instskip(NEXT) | instid1(SALU_CYCLE_1)
	s_add_nc_u64 s[4:5], s[8:9], s[4:5]
	s_add_co_u32 s4, s4, s15
	s_add_co_ci_u32 s8, s5, s14
	s_add_co_ci_u32 s11, s16, 0
	s_delay_alu instid0(SALU_CYCLE_1) | instskip(NEXT) | instid1(SALU_CYCLE_1)
	s_add_nc_u64 s[4:5], s[8:9], s[10:11]
	v_add_co_u32 v1, s2, s2, s4
	s_delay_alu instid0(VALU_DEP_1) | instskip(SKIP_1) | instid1(VALU_DEP_1)
	s_cmp_lg_u32 s2, 0
	s_add_co_ci_u32 s10, s3, s5
	v_readfirstlane_b32 s11, v1
	s_wait_kmcnt 0x0
	s_add_nc_u64 s[2:3], s[12:13], -1
	s_wait_alu 0xfffe
	s_mul_hi_u32 s5, s2, s10
	s_mul_i32 s4, s2, s10
	s_mul_hi_u32 s8, s2, s11
	s_mul_hi_u32 s15, s3, s11
	s_mul_i32 s11, s3, s11
	s_wait_alu 0xfffe
	s_add_nc_u64 s[4:5], s[8:9], s[4:5]
	s_mul_hi_u32 s14, s3, s10
	s_wait_alu 0xfffe
	s_add_co_u32 s4, s4, s11
	s_add_co_ci_u32 s8, s5, s15
	s_mul_i32 s10, s3, s10
	s_add_co_ci_u32 s11, s14, 0
	s_delay_alu instid0(SALU_CYCLE_1) | instskip(SKIP_2) | instid1(SALU_CYCLE_1)
	s_add_nc_u64 s[4:5], s[8:9], s[10:11]
	s_wait_alu 0xfffe
	s_mul_u64 s[10:11], s[4:5], 10
	v_sub_co_u32 v1, s2, s2, s10
	s_delay_alu instid0(VALU_DEP_1) | instskip(SKIP_1) | instid1(VALU_DEP_1)
	s_cmp_lg_u32 s2, 0
	s_sub_co_ci_u32 s14, s3, s11
	v_sub_co_u32 v2, s8, v1, 10
	s_delay_alu instid0(VALU_DEP_1) | instskip(SKIP_2) | instid1(VALU_DEP_1)
	s_cmp_lg_u32 s8, 0
	s_add_nc_u64 s[10:11], s[4:5], 2
	s_sub_co_ci_u32 s8, s14, 0
	v_readfirstlane_b32 s2, v2
	s_delay_alu instid0(VALU_DEP_1)
	s_cmp_gt_u32 s2, 9
	s_add_nc_u64 s[2:3], s[4:5], 1
	s_cselect_b32 s15, -1, 0
	s_cmp_eq_u32 s8, 0
	s_cselect_b32 s8, s15, -1
	v_readfirstlane_b32 s15, v1
	s_cmp_lg_u32 s8, 0
	s_wait_alu 0xfffe
	s_cselect_b32 s8, s10, s2
	s_cselect_b32 s10, s11, s3
	s_cmp_gt_u32 s15, 9
	s_cselect_b32 s2, -1, 0
	s_cmp_eq_u32 s14, 0
	s_mov_b64 s[14:15], 0
	s_wait_alu 0xfffe
	s_cselect_b32 s11, s2, -1
	s_load_b64 s[2:3], s[6:7], 0x0
	s_cmp_lg_u32 s11, 0
	s_cselect_b32 s5, s10, s5
	s_cselect_b32 s4, s8, s4
	s_mov_b32 s8, ttmp9
	s_wait_alu 0xfffe
	s_add_nc_u64 s[10:11], s[4:5], 1
	s_wait_alu 0xfffe
	v_cmp_lt_u64_e64 s4, s[8:9], s[10:11]
	s_delay_alu instid0(VALU_DEP_1)
	s_and_b32 vcc_lo, exec_lo, s4
	s_cbranch_vccnz .LBB0_2
; %bb.1:
	v_cvt_f32_u32_e32 v1, s10
	s_sub_co_i32 s5, 0, s10
	s_delay_alu instid0(VALU_DEP_1) | instskip(NEXT) | instid1(TRANS32_DEP_1)
	v_rcp_iflag_f32_e32 v1, v1
	v_mul_f32_e32 v1, 0x4f7ffffe, v1
	s_delay_alu instid0(VALU_DEP_1) | instskip(NEXT) | instid1(VALU_DEP_1)
	v_cvt_u32_f32_e32 v1, v1
	v_readfirstlane_b32 s4, v1
	s_wait_alu 0xfffe
	s_delay_alu instid0(VALU_DEP_1)
	s_mul_i32 s5, s5, s4
	s_wait_alu 0xfffe
	s_mul_hi_u32 s5, s4, s5
	s_wait_alu 0xfffe
	s_add_co_i32 s4, s4, s5
	s_wait_alu 0xfffe
	s_mul_hi_u32 s4, s8, s4
	s_wait_alu 0xfffe
	s_mul_i32 s5, s4, s10
	s_add_co_i32 s14, s4, 1
	s_wait_alu 0xfffe
	s_sub_co_i32 s5, s8, s5
	s_wait_alu 0xfffe
	s_sub_co_i32 s15, s5, s10
	s_cmp_ge_u32 s5, s10
	s_cselect_b32 s4, s14, s4
	s_cselect_b32 s5, s15, s5
	s_wait_alu 0xfffe
	s_add_co_i32 s14, s4, 1
	s_cmp_ge_u32 s5, s10
	s_mov_b32 s15, s9
	s_cselect_b32 s14, s14, s4
.LBB0_2:
	v_mul_u32_u24_e32 v1, 0x199a, v0
	s_load_b128 s[4:7], s[6:7], 0x8
	s_mul_u64 s[10:11], s[14:15], s[10:11]
	s_wait_alu 0xfffe
	s_sub_nc_u64 s[18:19], s[8:9], s[10:11]
	v_lshrrev_b32_e32 v37, 16, v1
	s_clause 0x1
	s_load_b64 s[10:11], s[0:1], 0x0
	s_load_b64 s[8:9], s[0:1], 0x50
	s_mul_u64 s[18:19], s[18:19], 10
	s_delay_alu instid0(SALU_CYCLE_1) | instskip(SKIP_3) | instid1(VALU_DEP_3)
	s_add_nc_u64 s[20:21], s[18:19], 10
	v_mul_lo_u16 v1, v37, 10
	v_cmp_gt_u64_e64 s22, s[20:21], s[12:13]
	v_cmp_le_u64_e64 s16, s[20:21], s[12:13]
	v_sub_nc_u16 v1, v0, v1
	s_delay_alu instid0(VALU_DEP_3) | instskip(NEXT) | instid1(VALU_DEP_1)
	s_and_b32 vcc_lo, exec_lo, s22
	v_and_b32_e32 v32, 0xffff, v1
	s_wait_kmcnt 0x0
	s_mul_u64 s[6:7], s[6:7], s[14:15]
	s_mul_u64 s[20:21], s[18:19], s[4:5]
	s_wait_alu 0xfffe
	s_add_nc_u64 s[6:7], s[6:7], s[20:21]
	v_add_co_u32 v21, s14, s18, v32
	s_delay_alu instid0(VALU_DEP_1)
	v_add_co_ci_u32_e64 v22, null, s19, 0, s14
	s_cbranch_vccz .LBB0_8
; %bb.3:
	s_mov_b32 s14, exec_lo
                                        ; implicit-def: $vgpr31
                                        ; implicit-def: $vgpr33
                                        ; implicit-def: $vgpr34
                                        ; implicit-def: $vgpr35
                                        ; implicit-def: $vgpr36
	s_delay_alu instid0(VALU_DEP_1)
	v_cmpx_le_u64_e64 s[12:13], v[21:22]
	s_wait_alu 0xfffe
	s_xor_b32 s14, exec_lo, s14
; %bb.4:
	v_add_nc_u32_e32 v31, 14, v37
	v_add_nc_u32_e32 v33, 28, v37
	;; [unrolled: 1-line block ×5, first 2 shown]
; %bb.5:
	s_wait_alu 0xfffe
	s_or_saveexec_b32 s14, s14
                                        ; implicit-def: $vgpr1
                                        ; implicit-def: $vgpr15
                                        ; implicit-def: $vgpr13
                                        ; implicit-def: $vgpr9
                                        ; implicit-def: $vgpr17
                                        ; implicit-def: $vgpr11
                                        ; implicit-def: $vgpr25
                                        ; implicit-def: $vgpr19
                                        ; implicit-def: $vgpr23
                                        ; implicit-def: $vgpr3
                                        ; implicit-def: $vgpr7
                                        ; implicit-def: $vgpr5
	s_wait_alu 0xfffe
	s_xor_b32 exec_lo, exec_lo, s14
	s_cbranch_execz .LBB0_7
; %bb.6:
	v_mad_co_u64_u32 v[1:2], null, s4, v32, 0
	v_mad_co_u64_u32 v[3:4], null, s2, v37, 0
	v_add_nc_u32_e32 v15, 0x62, v37
	s_lshl_b64 s[18:19], s[6:7], 3
	v_add_nc_u32_e32 v33, 28, v37
	s_wait_alu 0xfffe
	s_add_nc_u64 s[18:19], s[8:9], s[18:19]
	v_add_nc_u32_e32 v35, 56, v37
	v_add_nc_u32_e32 v20, 0x70, v37
	v_mad_co_u64_u32 v[5:6], null, s5, v32, v[2:3]
	v_add_nc_u32_e32 v13, 0x54, v37
	v_add_nc_u32_e32 v34, 42, v37
	;; [unrolled: 1-line block ×4, first 2 shown]
	v_mov_b32_e32 v2, v5
	v_mad_co_u64_u32 v[10:11], null, s3, v37, v[4:5]
	v_add_nc_u32_e32 v31, 14, v37
	v_mad_co_u64_u32 v[6:7], null, s2, v13, 0
	s_delay_alu instid0(VALU_DEP_4)
	v_lshlrev_b64_e32 v[1:2], 3, v[1:2]
	v_mad_co_u64_u32 v[11:12], null, s2, v15, 0
	v_mov_b32_e32 v4, v10
	v_mad_co_u64_u32 v[8:9], null, s2, v31, 0
	v_mov_b32_e32 v5, v7
	s_wait_alu 0xfffe
	v_add_co_u32 v42, vcc_lo, s18, v1
	v_lshlrev_b64_e32 v[3:4], 3, v[3:4]
	v_add_co_ci_u32_e32 v43, vcc_lo, s19, v2, vcc_lo
	v_mov_b32_e32 v7, v9
	v_mad_co_u64_u32 v[9:10], null, s3, v13, v[5:6]
	s_delay_alu instid0(VALU_DEP_4) | instskip(NEXT) | instid1(VALU_DEP_3)
	v_add_co_u32 v1, vcc_lo, v42, v3
	v_mad_co_u64_u32 v[13:14], null, s3, v31, v[7:8]
	s_wait_alu 0xfffd
	v_add_co_ci_u32_e32 v2, vcc_lo, v43, v4, vcc_lo
	s_delay_alu instid0(VALU_DEP_4) | instskip(SKIP_3) | instid1(VALU_DEP_4)
	v_mov_b32_e32 v7, v9
	v_mov_b32_e32 v3, v12
	v_mad_co_u64_u32 v[18:19], null, s2, v34, 0
	v_mov_b32_e32 v9, v13
	v_lshlrev_b64_e32 v[4:5], 3, v[6:7]
	v_mad_co_u64_u32 v[26:27], null, s2, v36, 0
	s_delay_alu instid0(VALU_DEP_2) | instskip(NEXT) | instid1(VALU_DEP_4)
	v_mad_co_u64_u32 v[6:7], null, s3, v15, v[3:4]
	v_lshlrev_b64_e32 v[7:8], 3, v[8:9]
	v_mad_co_u64_u32 v[9:10], null, s2, v33, 0
	v_add_co_u32 v3, vcc_lo, v42, v4
	s_wait_alu 0xfffd
	v_add_co_ci_u32_e32 v4, vcc_lo, v43, v5, vcc_lo
	v_mov_b32_e32 v12, v6
	v_add_co_u32 v13, vcc_lo, v42, v7
	v_mov_b32_e32 v5, v10
	s_wait_alu 0xfffd
	v_add_co_ci_u32_e32 v14, vcc_lo, v43, v8, vcc_lo
	v_lshlrev_b64_e32 v[6:7], 3, v[11:12]
	v_mad_co_u64_u32 v[11:12], null, s2, v20, 0
	s_delay_alu instid0(VALU_DEP_2) | instskip(SKIP_1) | instid1(VALU_DEP_3)
	v_mad_co_u64_u32 v[15:16], null, s3, v33, v[5:6]
	v_add_co_u32 v16, vcc_lo, v42, v6
	v_mov_b32_e32 v5, v12
	s_wait_alu 0xfffd
	v_add_co_ci_u32_e32 v17, vcc_lo, v43, v7, vcc_lo
	s_delay_alu instid0(VALU_DEP_4) | instskip(NEXT) | instid1(VALU_DEP_3)
	v_mov_b32_e32 v10, v15
	v_mad_co_u64_u32 v[23:24], null, s3, v20, v[5:6]
	s_clause 0x3
	global_load_b64 v[5:6], v[1:2], off
	global_load_b64 v[7:8], v[3:4], off
	;; [unrolled: 1-line block ×4, first 2 shown]
	v_dual_mov_b32 v13, v19 :: v_dual_add_nc_u32 v20, 0x7e, v37
	v_mad_co_u64_u32 v[16:17], null, s2, v35, 0
	v_lshlrev_b64_e32 v[9:10], 3, v[9:10]
	s_delay_alu instid0(VALU_DEP_3) | instskip(NEXT) | instid1(VALU_DEP_4)
	v_mad_co_u64_u32 v[13:14], null, s3, v34, v[13:14]
	v_mad_co_u64_u32 v[14:15], null, s2, v20, 0
	v_mov_b32_e32 v12, v23
	s_delay_alu instid0(VALU_DEP_4)
	v_add_co_u32 v9, vcc_lo, v42, v9
	s_wait_alu 0xfffd
	v_add_co_ci_u32_e32 v10, vcc_lo, v43, v10, vcc_lo
	v_mov_b32_e32 v19, v13
	v_mov_b32_e32 v13, v15
	v_lshlrev_b64_e32 v[11:12], 3, v[11:12]
	s_delay_alu instid0(VALU_DEP_2)
	v_mad_co_u64_u32 v[23:24], null, s3, v20, v[13:14]
	v_mad_co_u64_u32 v[24:25], null, s2, v28, 0
	v_mov_b32_e32 v13, v17
	v_lshlrev_b64_e32 v[17:18], 3, v[18:19]
	v_add_co_u32 v11, vcc_lo, v42, v11
	v_mov_b32_e32 v15, v23
	s_delay_alu instid0(VALU_DEP_4) | instskip(SKIP_4) | instid1(VALU_DEP_3)
	v_mad_co_u64_u32 v[19:20], null, s3, v35, v[13:14]
	v_dual_mov_b32 v13, v25 :: v_dual_add_nc_u32 v20, 0x9a, v37
	s_wait_alu 0xfffd
	v_add_co_ci_u32_e32 v12, vcc_lo, v43, v12, vcc_lo
	v_add_co_u32 v38, vcc_lo, v42, v17
	v_mad_co_u64_u32 v[28:29], null, s3, v28, v[13:14]
	v_lshlrev_b64_e32 v[14:15], 3, v[14:15]
	v_mad_co_u64_u32 v[29:30], null, s2, v20, 0
	v_mov_b32_e32 v13, v27
	v_mov_b32_e32 v17, v19
	s_wait_alu 0xfffd
	v_add_co_ci_u32_e32 v39, vcc_lo, v43, v18, vcc_lo
	v_add_co_u32 v40, vcc_lo, v42, v14
	v_mad_co_u64_u32 v[18:19], null, s3, v36, v[13:14]
	s_wait_alu 0xfffd
	v_add_co_ci_u32_e32 v41, vcc_lo, v43, v15, vcc_lo
	v_lshlrev_b64_e32 v[14:15], 3, v[16:17]
	v_mov_b32_e32 v13, v30
	v_mov_b32_e32 v25, v28
	;; [unrolled: 1-line block ×3, first 2 shown]
	s_delay_alu instid0(VALU_DEP_3) | instskip(NEXT) | instid1(VALU_DEP_3)
	v_mad_co_u64_u32 v[16:17], null, s3, v20, v[13:14]
	v_lshlrev_b64_e32 v[19:20], 3, v[24:25]
	v_add_co_u32 v13, vcc_lo, v42, v14
	s_delay_alu instid0(VALU_DEP_4)
	v_lshlrev_b64_e32 v[17:18], 3, v[26:27]
	s_wait_alu 0xfffd
	v_add_co_ci_u32_e32 v14, vcc_lo, v43, v15, vcc_lo
	v_mov_b32_e32 v30, v16
	v_add_co_u32 v27, vcc_lo, v42, v19
	s_wait_alu 0xfffd
	v_add_co_ci_u32_e32 v28, vcc_lo, v43, v20, vcc_lo
	s_delay_alu instid0(VALU_DEP_3) | instskip(SKIP_3) | instid1(VALU_DEP_3)
	v_lshlrev_b64_e32 v[15:16], 3, v[29:30]
	v_add_co_u32 v29, vcc_lo, v42, v17
	s_wait_alu 0xfffd
	v_add_co_ci_u32_e32 v30, vcc_lo, v43, v18, vcc_lo
	v_add_co_u32 v42, vcc_lo, v42, v15
	s_wait_alu 0xfffd
	v_add_co_ci_u32_e32 v43, vcc_lo, v43, v16, vcc_lo
	s_clause 0x7
	global_load_b64 v[23:24], v[9:10], off
	global_load_b64 v[15:16], v[11:12], off
	global_load_b64 v[19:20], v[38:39], off
	global_load_b64 v[25:26], v[40:41], off
	global_load_b64 v[11:12], v[13:14], off
	global_load_b64 v[17:18], v[27:28], off
	global_load_b64 v[9:10], v[29:30], off
	global_load_b64 v[13:14], v[42:43], off
.LBB0_7:
	s_or_b32 exec_lo, exec_lo, s14
	s_cbranch_execz .LBB0_9
	s_branch .LBB0_10
.LBB0_8:
                                        ; implicit-def: $vgpr1
                                        ; implicit-def: $vgpr15
                                        ; implicit-def: $vgpr13
                                        ; implicit-def: $vgpr9
                                        ; implicit-def: $vgpr17
                                        ; implicit-def: $vgpr11
                                        ; implicit-def: $vgpr25
                                        ; implicit-def: $vgpr19
                                        ; implicit-def: $vgpr23
                                        ; implicit-def: $vgpr3
                                        ; implicit-def: $vgpr7
                                        ; implicit-def: $vgpr5
                                        ; implicit-def: $vgpr31
                                        ; implicit-def: $vgpr33
                                        ; implicit-def: $vgpr34
                                        ; implicit-def: $vgpr35
                                        ; implicit-def: $vgpr36
	s_and_not1_b32 vcc_lo, exec_lo, s17
	s_cbranch_vccnz .LBB0_10
.LBB0_9:
	s_wait_loadcnt 0x8
	v_mad_co_u64_u32 v[1:2], null, s4, v32, 0
	v_mad_co_u64_u32 v[3:4], null, s2, v37, 0
	s_wait_loadcnt 0x6
	v_add_nc_u32_e32 v15, 0x62, v37
	s_lshl_b64 s[14:15], s[6:7], 3
	v_add_nc_u32_e32 v33, 28, v37
	s_wait_alu 0xfffe
	s_add_nc_u64 s[14:15], s[8:9], s[14:15]
	v_add_nc_u32_e32 v35, 56, v37
	s_wait_loadcnt 0x5
	v_add_nc_u32_e32 v20, 0x70, v37
	v_mad_co_u64_u32 v[5:6], null, s5, v32, v[2:3]
	s_wait_loadcnt 0x0
	v_add_nc_u32_e32 v13, 0x54, v37
	v_add_nc_u32_e32 v34, 42, v37
	;; [unrolled: 1-line block ×4, first 2 shown]
	v_mov_b32_e32 v2, v5
	v_mad_co_u64_u32 v[10:11], null, s3, v37, v[4:5]
	v_add_nc_u32_e32 v31, 14, v37
	v_mad_co_u64_u32 v[6:7], null, s2, v13, 0
	s_delay_alu instid0(VALU_DEP_4)
	v_lshlrev_b64_e32 v[1:2], 3, v[1:2]
	v_mad_co_u64_u32 v[11:12], null, s2, v15, 0
	v_mov_b32_e32 v4, v10
	v_mad_co_u64_u32 v[8:9], null, s2, v31, 0
	v_mov_b32_e32 v5, v7
	s_wait_alu 0xfffe
	v_add_co_u32 v42, vcc_lo, s14, v1
	v_lshlrev_b64_e32 v[3:4], 3, v[3:4]
	s_wait_alu 0xfffd
	v_add_co_ci_u32_e32 v43, vcc_lo, s15, v2, vcc_lo
	v_mov_b32_e32 v7, v9
	v_mad_co_u64_u32 v[9:10], null, s3, v13, v[5:6]
	s_delay_alu instid0(VALU_DEP_4) | instskip(NEXT) | instid1(VALU_DEP_3)
	v_add_co_u32 v1, vcc_lo, v42, v3
	v_mad_co_u64_u32 v[13:14], null, s3, v31, v[7:8]
	s_wait_alu 0xfffd
	v_add_co_ci_u32_e32 v2, vcc_lo, v43, v4, vcc_lo
	s_delay_alu instid0(VALU_DEP_4) | instskip(SKIP_3) | instid1(VALU_DEP_4)
	v_mov_b32_e32 v7, v9
	v_mov_b32_e32 v3, v12
	v_mad_co_u64_u32 v[18:19], null, s2, v34, 0
	v_mov_b32_e32 v9, v13
	v_lshlrev_b64_e32 v[4:5], 3, v[6:7]
	v_mad_co_u64_u32 v[26:27], null, s2, v36, 0
	s_delay_alu instid0(VALU_DEP_2) | instskip(NEXT) | instid1(VALU_DEP_4)
	v_mad_co_u64_u32 v[6:7], null, s3, v15, v[3:4]
	v_lshlrev_b64_e32 v[7:8], 3, v[8:9]
	v_mad_co_u64_u32 v[9:10], null, s2, v33, 0
	v_add_co_u32 v3, vcc_lo, v42, v4
	s_wait_alu 0xfffd
	v_add_co_ci_u32_e32 v4, vcc_lo, v43, v5, vcc_lo
	v_mov_b32_e32 v12, v6
	v_add_co_u32 v13, vcc_lo, v42, v7
	v_mov_b32_e32 v5, v10
	s_wait_alu 0xfffd
	v_add_co_ci_u32_e32 v14, vcc_lo, v43, v8, vcc_lo
	v_lshlrev_b64_e32 v[6:7], 3, v[11:12]
	v_mad_co_u64_u32 v[11:12], null, s2, v20, 0
	s_delay_alu instid0(VALU_DEP_2) | instskip(SKIP_1) | instid1(VALU_DEP_3)
	v_mad_co_u64_u32 v[15:16], null, s3, v33, v[5:6]
	v_add_co_u32 v16, vcc_lo, v42, v6
	v_mov_b32_e32 v5, v12
	s_wait_alu 0xfffd
	v_add_co_ci_u32_e32 v17, vcc_lo, v43, v7, vcc_lo
	s_delay_alu instid0(VALU_DEP_4) | instskip(NEXT) | instid1(VALU_DEP_3)
	v_mov_b32_e32 v10, v15
	v_mad_co_u64_u32 v[23:24], null, s3, v20, v[5:6]
	s_clause 0x3
	global_load_b64 v[5:6], v[1:2], off
	global_load_b64 v[7:8], v[3:4], off
	;; [unrolled: 1-line block ×4, first 2 shown]
	v_dual_mov_b32 v13, v19 :: v_dual_add_nc_u32 v20, 0x7e, v37
	v_mad_co_u64_u32 v[16:17], null, s2, v35, 0
	v_lshlrev_b64_e32 v[9:10], 3, v[9:10]
	s_delay_alu instid0(VALU_DEP_3) | instskip(NEXT) | instid1(VALU_DEP_4)
	v_mad_co_u64_u32 v[13:14], null, s3, v34, v[13:14]
	v_mad_co_u64_u32 v[14:15], null, s2, v20, 0
	v_mov_b32_e32 v12, v23
	s_delay_alu instid0(VALU_DEP_4)
	v_add_co_u32 v9, vcc_lo, v42, v9
	s_wait_alu 0xfffd
	v_add_co_ci_u32_e32 v10, vcc_lo, v43, v10, vcc_lo
	v_mov_b32_e32 v19, v13
	v_mov_b32_e32 v13, v15
	v_lshlrev_b64_e32 v[11:12], 3, v[11:12]
	s_delay_alu instid0(VALU_DEP_2)
	v_mad_co_u64_u32 v[23:24], null, s3, v20, v[13:14]
	v_mad_co_u64_u32 v[24:25], null, s2, v28, 0
	v_mov_b32_e32 v13, v17
	v_lshlrev_b64_e32 v[17:18], 3, v[18:19]
	v_add_co_u32 v11, vcc_lo, v42, v11
	v_mov_b32_e32 v15, v23
	s_delay_alu instid0(VALU_DEP_4) | instskip(SKIP_4) | instid1(VALU_DEP_3)
	v_mad_co_u64_u32 v[19:20], null, s3, v35, v[13:14]
	v_dual_mov_b32 v13, v25 :: v_dual_add_nc_u32 v20, 0x9a, v37
	s_wait_alu 0xfffd
	v_add_co_ci_u32_e32 v12, vcc_lo, v43, v12, vcc_lo
	v_add_co_u32 v38, vcc_lo, v42, v17
	v_mad_co_u64_u32 v[28:29], null, s3, v28, v[13:14]
	v_lshlrev_b64_e32 v[14:15], 3, v[14:15]
	v_mad_co_u64_u32 v[29:30], null, s2, v20, 0
	v_mov_b32_e32 v13, v27
	v_mov_b32_e32 v17, v19
	s_wait_alu 0xfffd
	v_add_co_ci_u32_e32 v39, vcc_lo, v43, v18, vcc_lo
	v_add_co_u32 v40, vcc_lo, v42, v14
	v_mad_co_u64_u32 v[18:19], null, s3, v36, v[13:14]
	s_wait_alu 0xfffd
	v_add_co_ci_u32_e32 v41, vcc_lo, v43, v15, vcc_lo
	v_lshlrev_b64_e32 v[14:15], 3, v[16:17]
	v_mov_b32_e32 v13, v30
	v_mov_b32_e32 v25, v28
	;; [unrolled: 1-line block ×3, first 2 shown]
	s_delay_alu instid0(VALU_DEP_3) | instskip(NEXT) | instid1(VALU_DEP_3)
	v_mad_co_u64_u32 v[16:17], null, s3, v20, v[13:14]
	v_lshlrev_b64_e32 v[19:20], 3, v[24:25]
	v_add_co_u32 v13, vcc_lo, v42, v14
	s_delay_alu instid0(VALU_DEP_4)
	v_lshlrev_b64_e32 v[17:18], 3, v[26:27]
	s_wait_alu 0xfffd
	v_add_co_ci_u32_e32 v14, vcc_lo, v43, v15, vcc_lo
	v_mov_b32_e32 v30, v16
	v_add_co_u32 v27, vcc_lo, v42, v19
	s_wait_alu 0xfffd
	v_add_co_ci_u32_e32 v28, vcc_lo, v43, v20, vcc_lo
	s_delay_alu instid0(VALU_DEP_3) | instskip(SKIP_3) | instid1(VALU_DEP_3)
	v_lshlrev_b64_e32 v[15:16], 3, v[29:30]
	v_add_co_u32 v29, vcc_lo, v42, v17
	s_wait_alu 0xfffd
	v_add_co_ci_u32_e32 v30, vcc_lo, v43, v18, vcc_lo
	v_add_co_u32 v42, vcc_lo, v42, v15
	s_wait_alu 0xfffd
	v_add_co_ci_u32_e32 v43, vcc_lo, v43, v16, vcc_lo
	s_clause 0x7
	global_load_b64 v[23:24], v[9:10], off
	global_load_b64 v[15:16], v[11:12], off
	;; [unrolled: 1-line block ×8, first 2 shown]
.LBB0_10:
	s_wait_loadcnt 0xa
	v_dual_sub_f32 v7, v5, v7 :: v_dual_sub_f32 v8, v6, v8
	v_mul_u32_u24_e32 v27, 0xa0, v37
	s_wait_loadcnt 0x0
	v_dual_sub_f32 v13, v9, v13 :: v_dual_lshlrev_b32 v38, 3, v32
	v_dual_sub_f32 v1, v3, v1 :: v_dual_sub_f32 v2, v4, v2
	v_mul_i32_i24_e32 v28, 0xa0, v31
	v_fma_f32 v5, v5, 2.0, -v7
	v_fma_f32 v6, v6, 2.0, -v8
	v_add3_u32 v27, 0, v27, v38
	v_fma_f32 v3, v3, 2.0, -v1
	v_fma_f32 v4, v4, 2.0, -v2
	v_add3_u32 v28, 0, v28, v38
	v_dual_sub_f32 v15, v23, v15 :: v_dual_sub_f32 v16, v24, v16
	v_dual_sub_f32 v14, v10, v14 :: v_dual_and_b32 v45, 1, v37
	ds_store_2addr_b64 v27, v[5:6], v[7:8] offset1:10
	ds_store_2addr_b64 v28, v[3:4], v[1:2] offset1:10
	v_mul_i32_i24_e32 v1, 0xa0, v33
	v_mul_i32_i24_e32 v3, 0xa0, v35
	v_dual_sub_f32 v25, v19, v25 :: v_dual_sub_f32 v26, v20, v26
	v_mul_i32_i24_e32 v2, 0xa0, v34
	v_dual_sub_f32 v17, v11, v17 :: v_dual_sub_f32 v18, v12, v18
	v_mul_i32_i24_e32 v4, 0xa0, v36
	v_fma_f32 v23, v23, 2.0, -v15
	v_fma_f32 v24, v24, 2.0, -v16
	v_add3_u32 v27, 0, v1, v38
	v_add3_u32 v28, 0, v3, v38
	v_mul_u32_u24_e32 v3, 5, v45
	v_fma_f32 v19, v19, 2.0, -v25
	v_fma_f32 v20, v20, 2.0, -v26
	v_add3_u32 v1, 0, v2, v38
	v_fma_f32 v11, v11, 2.0, -v17
	v_fma_f32 v12, v12, 2.0, -v18
	;; [unrolled: 1-line block ×4, first 2 shown]
	v_add3_u32 v2, 0, v4, v38
	ds_store_2addr_b64 v27, v[23:24], v[15:16] offset1:10
	ds_store_2addr_b64 v1, v[19:20], v[25:26] offset1:10
	;; [unrolled: 1-line block ×4, first 2 shown]
	v_lshlrev_b32_e32 v9, 3, v3
	global_wb scope:SCOPE_SE
	s_wait_dscnt 0x0
	s_barrier_signal -1
	s_barrier_wait -1
	global_inv scope:SCOPE_SE
	s_clause 0x2
	global_load_b128 v[1:4], v9, s[10:11]
	global_load_b128 v[5:8], v9, s[10:11] offset:16
	global_load_b64 v[23:24], v9, s[10:11] offset:32
	v_mul_u32_u24_e32 v9, 0x50, v37
	v_mad_i32_i24 v42, 0xffffffb0, v33, v27
	v_mad_i32_i24 v41, 0xffffffb0, v35, v28
	v_lshrrev_b32_e32 v12, 1, v31
	v_mul_i32_i24_e32 v10, 0x50, v31
	v_add3_u32 v39, 0, v9, v38
	ds_load_b64 v[25:26], v42
	ds_load_b64 v[27:28], v39
	ds_load_b64 v[29:30], v39 offset:3360
	ds_load_b64 v[43:44], v41
	v_lshrrev_b32_e32 v11, 1, v37
	v_mul_lo_u32 v13, v12, 12
	v_add3_u32 v40, 0, v10, v38
	v_add_nc_u32_e32 v10, 0x1400, v39
	v_add_nc_u32_e32 v14, 0x1c00, v39
	v_mul_u32_u24_e32 v9, 12, v11
	v_add_nc_u32_e32 v17, 0x2400, v39
	v_add_nc_u32_e32 v51, 0x1e00, v39
	v_cmp_gt_u32_e32 vcc_lo, 0x64, v0
	v_or_b32_e32 v47, v13, v45
	v_or_b32_e32 v49, v9, v45
	ds_load_2addr_b64 v[17:20], v17 offset0:108 offset1:248
	ds_load_b64 v[45:46], v40
	v_mul_lo_u32 v52, 0x50, v47
	ds_load_b64 v[47:48], v39 offset:12320
	v_mul_u32_u24_e32 v49, 0x50, v49
	s_delay_alu instid0(VALU_DEP_1)
	v_add3_u32 v49, 0, v49, v38
	v_add3_u32 v52, 0, v52, v38
	s_wait_loadcnt_dscnt 0x206
	v_mul_f32_e32 v53, v2, v26
	ds_load_2addr_b64 v[9:12], v10 offset0:60 offset1:200
	s_wait_dscnt 0x4
	v_mul_f32_e32 v55, v4, v44
	ds_load_2addr_b64 v[13:16], v14 offset0:84 offset1:224
	v_add_nc_u32_e32 v50, 0xf00, v39
	v_mul_f32_e32 v54, v2, v25
	v_dual_mul_f32 v56, v4, v43 :: v_dual_mul_f32 v63, v30, v2
	s_wait_loadcnt_dscnt 0x4
	v_dual_mul_f32 v61, v20, v24 :: v_dual_mul_f32 v2, v29, v2
	v_fma_f32 v53, v1, v25, -v53
	v_fma_f32 v25, v3, v43, -v55
	v_mul_f32_e32 v62, v19, v24
	s_wait_dscnt 0x2
	v_dual_mul_f32 v67, v48, v24 :: v_dual_fmac_f32 v54, v1, v26
	global_wb scope:SCOPE_SE
	s_wait_dscnt 0x0
	s_barrier_signal -1
	s_barrier_wait -1
	global_inv scope:SCOPE_SE
	v_mul_f32_e32 v57, v6, v12
	v_dual_mul_f32 v58, v6, v11 :: v_dual_mul_f32 v59, v8, v16
	v_dual_mul_f32 v60, v8, v15 :: v_dual_mul_f32 v65, v14, v6
	v_mul_f32_e32 v64, v10, v4
	v_mul_f32_e32 v6, v13, v6
	v_fma_f32 v11, v5, v11, -v57
	v_fmac_f32_e32 v58, v5, v12
	v_fma_f32 v12, v7, v15, -v59
	v_fmac_f32_e32 v60, v7, v16
	v_fma_f32 v15, v19, v23, -v61
	v_fma_f32 v16, v29, v1, -v63
	v_fmac_f32_e32 v2, v30, v1
	v_fma_f32 v1, v9, v3, -v64
	v_mul_f32_e32 v24, v47, v24
	v_fmac_f32_e32 v6, v14, v5
	v_dual_mul_f32 v66, v18, v8 :: v_dual_add_f32 v19, v53, v11
	s_delay_alu instid0(VALU_DEP_3) | instskip(SKIP_4) | instid1(VALU_DEP_3)
	v_dual_add_f32 v29, v45, v1 :: v_dual_fmac_f32 v24, v48, v23
	v_fmac_f32_e32 v62, v20, v23
	v_add_f32_e32 v20, v11, v15
	v_dual_sub_f32 v11, v11, v15 :: v_dual_mul_f32 v8, v17, v8
	v_fmac_f32_e32 v56, v3, v44
	v_fmac_f32_e32 v53, -0.5, v20
	v_sub_f32_e32 v55, v6, v24
	v_dual_mul_f32 v4, v9, v4 :: v_dual_add_f32 v9, v27, v25
	v_fmac_f32_e32 v8, v18, v7
	s_delay_alu instid0(VALU_DEP_2)
	v_fmac_f32_e32 v4, v10, v3
	v_fma_f32 v3, v13, v5, -v65
	v_fma_f32 v5, v17, v7, -v66
	;; [unrolled: 1-line block ×3, first 2 shown]
	v_add_f32_e32 v10, v25, v12
	v_add_f32_e32 v9, v9, v12
	s_delay_alu instid0(VALU_DEP_4)
	v_dual_add_f32 v47, v16, v3 :: v_dual_add_f32 v30, v1, v5
	v_sub_f32_e32 v1, v1, v5
	v_add_f32_e32 v17, v56, v60
	v_sub_f32_e32 v13, v56, v60
	v_add_f32_e32 v14, v28, v56
	v_dual_sub_f32 v43, v4, v8 :: v_dual_add_f32 v48, v3, v7
	v_sub_f32_e32 v3, v3, v7
	v_fma_f32 v27, -0.5, v10, v27
	v_sub_f32_e32 v18, v25, v12
	v_add_f32_e32 v12, v19, v15
	v_dual_add_f32 v56, v2, v6 :: v_dual_add_f32 v15, v29, v5
	v_dual_fmac_f32 v28, -0.5, v17 :: v_dual_sub_f32 v23, v58, v62
	v_add_f32_e32 v26, v58, v62
	v_add_f32_e32 v44, v46, v4
	;; [unrolled: 1-line block ×4, first 2 shown]
	v_fmamk_f32 v24, v13, 0x3f5db3d7, v27
	v_fmac_f32_e32 v27, 0xbf5db3d7, v13
	v_fmamk_f32 v29, v18, 0xbf5db3d7, v28
	v_fma_f32 v19, -0.5, v30, v45
	v_dual_add_f32 v4, v4, v8 :: v_dual_add_f32 v25, v54, v58
	v_fmamk_f32 v13, v23, 0x3f5db3d7, v53
	v_fmac_f32_e32 v53, 0xbf5db3d7, v23
	s_delay_alu instid0(VALU_DEP_4) | instskip(NEXT) | instid1(VALU_DEP_4)
	v_fmamk_f32 v30, v43, 0x3f5db3d7, v19
	v_dual_fmac_f32 v19, 0xbf5db3d7, v43 :: v_dual_fmac_f32 v46, -0.5, v4
	v_add_f32_e32 v4, v47, v7
	v_dual_fmac_f32 v54, -0.5, v26 :: v_dual_add_f32 v5, v9, v12
	v_fmac_f32_e32 v16, -0.5, v48
	v_add_f32_e32 v10, v14, v60
	v_sub_f32_e32 v7, v9, v12
	v_fmamk_f32 v43, v1, 0xbf5db3d7, v46
	v_fmac_f32_e32 v2, -0.5, v6
	v_dual_add_f32 v14, v25, v62 :: v_dual_add_f32 v9, v15, v4
	v_dual_fmac_f32 v28, 0x3f5db3d7, v18 :: v_dual_sub_f32 v25, v15, v4
	v_fmamk_f32 v18, v11, 0xbf5db3d7, v54
	v_dual_fmac_f32 v54, 0x3f5db3d7, v11 :: v_dual_add_f32 v17, v44, v8
	s_delay_alu instid0(VALU_DEP_1) | instskip(SKIP_2) | instid1(VALU_DEP_3)
	v_dual_mul_f32 v4, -0.5, v53 :: v_dual_mul_f32 v23, -0.5, v54
	v_fmac_f32_e32 v46, 0x3f5db3d7, v1
	v_fmamk_f32 v1, v55, 0x3f5db3d7, v16
	v_fmac_f32_e32 v23, 0xbf5db3d7, v53
	v_fmamk_f32 v11, v3, 0xbf5db3d7, v2
	s_delay_alu instid0(VALU_DEP_3) | instskip(NEXT) | instid1(VALU_DEP_2)
	v_dual_mul_f32 v47, 0xbf5db3d7, v1 :: v_dual_fmac_f32 v16, 0xbf5db3d7, v55
	v_mul_f32_e32 v44, 0x3f5db3d7, v11
	s_delay_alu instid0(VALU_DEP_2) | instskip(NEXT) | instid1(VALU_DEP_2)
	v_fmac_f32_e32 v47, 0.5, v11
	v_dual_mul_f32 v45, -0.5, v16 :: v_dual_fmac_f32 v44, 0.5, v1
	v_dual_fmac_f32 v2, 0x3f5db3d7, v3 :: v_dual_mul_f32 v3, 0x3f5db3d7, v18
	s_delay_alu instid0(VALU_DEP_2) | instskip(NEXT) | instid1(VALU_DEP_2)
	v_sub_f32_e32 v1, v30, v44
	v_fmac_f32_e32 v45, 0x3f5db3d7, v2
	s_delay_alu instid0(VALU_DEP_3)
	v_dual_fmac_f32 v3, 0.5, v13 :: v_dual_add_f32 v6, v10, v14
	v_sub_f32_e32 v26, v17, v20
	v_fmac_f32_e32 v4, 0x3f5db3d7, v54
	v_sub_f32_e32 v8, v10, v14
	v_add_f32_e32 v10, v17, v20
	v_mul_f32_e32 v20, 0xbf5db3d7, v13
	s_delay_alu instid0(VALU_DEP_4) | instskip(SKIP_1) | instid1(VALU_DEP_3)
	v_dual_mul_f32 v48, -0.5, v2 :: v_dual_add_f32 v13, v27, v4
	v_add_f32_e32 v11, v24, v3
	v_dual_sub_f32 v17, v27, v4 :: v_dual_fmac_f32 v20, 0.5, v18
	s_delay_alu instid0(VALU_DEP_3) | instskip(SKIP_2) | instid1(VALU_DEP_4)
	v_dual_add_f32 v27, v19, v45 :: v_dual_fmac_f32 v48, 0xbf5db3d7, v16
	v_add_f32_e32 v14, v28, v23
	v_sub_f32_e32 v15, v24, v3
	v_dual_sub_f32 v3, v19, v45 :: v_dual_add_f32 v12, v29, v20
	v_sub_f32_e32 v16, v29, v20
	v_dual_sub_f32 v18, v28, v23 :: v_dual_add_f32 v23, v30, v44
	v_add_f32_e32 v24, v43, v47
	v_add_f32_e32 v28, v46, v48
	v_sub_f32_e32 v2, v43, v47
	v_sub_f32_e32 v4, v46, v48
	ds_store_2addr_b64 v49, v[5:6], v[11:12] offset1:20
	ds_store_2addr_b64 v49, v[13:14], v[7:8] offset0:40 offset1:60
	ds_store_2addr_b64 v49, v[15:16], v[17:18] offset0:80 offset1:100
	ds_store_2addr_b64 v52, v[9:10], v[23:24] offset1:20
	ds_store_2addr_b64 v52, v[27:28], v[25:26] offset0:40 offset1:60
	ds_store_2addr_b64 v52, v[1:2], v[3:4] offset0:80 offset1:100
	global_wb scope:SCOPE_SE
	s_wait_dscnt 0x0
	s_barrier_signal -1
	s_barrier_wait -1
	global_inv scope:SCOPE_SE
	ds_load_2addr_b64 v[9:12], v39 offset1:240
	ds_load_2addr_b64 v[17:20], v50 offset1:240
	;; [unrolled: 1-line block ×3, first 2 shown]
	ds_load_b64 v[29:30], v39 offset:11520
                                        ; kill: def $vgpr5 killed $sgpr0 killed $exec
                                        ; implicit-def: $vgpr8
	s_and_saveexec_b32 s14, vcc_lo
	s_cbranch_execz .LBB0_12
; %bb.11:
	v_add_nc_u32_e32 v1, 0x1000, v39
	v_add_nc_u32_e32 v2, 0x1a80, v39
	;; [unrolled: 1-line block ×3, first 2 shown]
	ds_load_b64 v[23:24], v40
	ds_load_b64 v[27:28], v39 offset:3040
	ds_load_2addr_b32 v[25:26], v1 offset0:216 offset1:217
	ds_load_2addr_b64 v[1:4], v2 offset0:12 offset1:252
	ds_load_2addr_b64 v[5:8], v5 offset0:12 offset1:252
.LBB0_12:
	s_wait_alu 0xfffe
	s_or_b32 exec_lo, exec_lo, s14
	v_mul_lo_u16 v43, v37, 22
	s_delay_alu instid0(VALU_DEP_1) | instskip(NEXT) | instid1(VALU_DEP_1)
	v_lshrrev_b16 v55, 8, v43
	v_mul_lo_u16 v43, v55, 12
	s_delay_alu instid0(VALU_DEP_1) | instskip(NEXT) | instid1(VALU_DEP_1)
	v_sub_nc_u16 v43, v37, v43
	v_and_b32_e32 v56, 0xff, v43
	s_delay_alu instid0(VALU_DEP_1) | instskip(NEXT) | instid1(VALU_DEP_1)
	v_mul_u32_u24_e32 v43, 6, v56
	v_lshlrev_b32_e32 v51, 3, v43
	s_clause 0x2
	global_load_b128 v[43:46], v51, s[10:11] offset:80
	global_load_b128 v[47:50], v51, s[10:11] offset:96
	;; [unrolled: 1-line block ×3, first 2 shown]
	v_and_b32_e32 v55, 0xffff, v55
	global_wb scope:SCOPE_SE
	s_wait_loadcnt_dscnt 0x0
	s_barrier_signal -1
	s_barrier_wait -1
	global_inv scope:SCOPE_SE
	v_mul_f32_e32 v59, v46, v18
	v_mul_f32_e32 v46, v46, v17
	v_mad_u32_u24 v55, 0x54, v55, v56
	v_mul_f32_e32 v58, v44, v12
	v_dual_mul_f32 v44, v44, v11 :: v_dual_mul_f32 v63, v54, v30
	s_delay_alu instid0(VALU_DEP_4) | instskip(NEXT) | instid1(VALU_DEP_4)
	v_fmac_f32_e32 v46, v45, v18
	v_mul_u32_u24_e32 v55, 0x50, v55
	s_delay_alu instid0(VALU_DEP_4) | instskip(NEXT) | instid1(VALU_DEP_4)
	v_fma_f32 v11, v43, v11, -v58
	v_fmac_f32_e32 v44, v43, v12
	v_fma_f32 v12, v45, v17, -v59
	v_fma_f32 v18, v53, v29, -v63
	v_add3_u32 v55, 0, v55, v38
	v_mul_f32_e32 v54, v54, v29
	v_dual_mul_f32 v60, v48, v20 :: v_dual_mul_f32 v61, v50, v14
	v_mul_f32_e32 v50, v50, v13
	s_delay_alu instid0(VALU_DEP_4)
	v_add_nc_u32_e32 v56, 0x400, v55
	v_add_nc_u32_e32 v57, 0xc00, v55
	v_mul_f32_e32 v48, v48, v19
	v_fma_f32 v17, v47, v19, -v60
	v_fma_f32 v13, v49, v13, -v61
	v_mul_f32_e32 v62, v52, v16
	v_fmac_f32_e32 v50, v49, v14
	s_delay_alu instid0(VALU_DEP_3) | instskip(SKIP_1) | instid1(VALU_DEP_4)
	v_dual_mul_f32 v52, v52, v15 :: v_dual_add_f32 v29, v17, v13
	v_sub_f32_e32 v13, v13, v17
	v_fma_f32 v14, v51, v15, -v62
	v_add_f32_e32 v15, v11, v18
	v_sub_f32_e32 v11, v11, v18
	s_delay_alu instid0(VALU_DEP_3) | instskip(SKIP_1) | instid1(VALU_DEP_2)
	v_add_f32_e32 v19, v12, v14
	v_fmac_f32_e32 v54, v53, v30
	v_dual_sub_f32 v12, v12, v14 :: v_dual_add_f32 v43, v19, v15
	v_fmac_f32_e32 v52, v51, v16
	v_sub_f32_e32 v45, v19, v15
	s_delay_alu instid0(VALU_DEP_4) | instskip(SKIP_3) | instid1(VALU_DEP_3)
	v_dual_sub_f32 v19, v29, v19 :: v_dual_sub_f32 v18, v44, v54
	v_fmac_f32_e32 v48, v47, v20
	v_dual_add_f32 v16, v44, v54 :: v_dual_sub_f32 v15, v15, v29
	v_add_f32_e32 v47, v13, v12
	v_dual_sub_f32 v49, v13, v12 :: v_dual_add_f32 v30, v48, v50
	v_sub_f32_e32 v17, v50, v48
	v_dual_add_f32 v29, v29, v43 :: v_dual_add_f32 v20, v46, v52
	v_dual_sub_f32 v13, v11, v13 :: v_dual_sub_f32 v14, v46, v52
	v_mul_f32_e32 v15, 0x3f4a47b2, v15
	v_sub_f32_e32 v12, v12, v11
	s_delay_alu instid0(VALU_DEP_4)
	v_dual_add_f32 v44, v20, v16 :: v_dual_mul_f32 v43, 0x3d64c772, v19
	v_dual_sub_f32 v46, v20, v16 :: v_dual_add_f32 v11, v47, v11
	v_dual_mul_f32 v47, 0xbf08b237, v49 :: v_dual_sub_f32 v20, v30, v20
	v_add_f32_e32 v9, v29, v9
	v_dual_add_f32 v48, v17, v14 :: v_dual_fmamk_f32 v19, v19, 0x3d64c772, v15
	v_fma_f32 v43, 0x3f3bfb3b, v45, -v43
	v_fma_f32 v15, 0xbf3bfb3b, v45, -v15
	v_dual_fmamk_f32 v45, v13, 0x3eae86e6, v47 :: v_dual_sub_f32 v16, v16, v30
	v_mul_f32_e32 v49, 0x3f5ff5aa, v12
	v_fma_f32 v47, 0x3f5ff5aa, v12, -v47
	v_add_f32_e32 v30, v30, v44
	v_fmamk_f32 v12, v29, 0xbf955555, v9
	v_fmac_f32_e32 v45, 0x3ee1c552, v11
	v_fma_f32 v49, 0xbeae86e6, v13, -v49
	s_delay_alu instid0(VALU_DEP_4)
	v_dual_fmac_f32 v47, 0x3ee1c552, v11 :: v_dual_add_f32 v10, v30, v10
	v_sub_f32_e32 v50, v17, v14
	v_sub_f32_e32 v14, v14, v18
	v_dual_sub_f32 v17, v18, v17 :: v_dual_add_f32 v18, v48, v18
	v_fmac_f32_e32 v49, 0x3ee1c552, v11
	v_fmamk_f32 v13, v30, 0xbf955555, v10
	v_dual_mul_f32 v48, 0xbf08b237, v50 :: v_dual_add_f32 v29, v19, v12
	v_mul_f32_e32 v50, 0x3f5ff5aa, v14
	v_mul_f32_e32 v16, 0x3f4a47b2, v16
	v_add_f32_e32 v19, v15, v12
	s_delay_alu instid0(VALU_DEP_3) | instskip(NEXT) | instid1(VALU_DEP_1)
	v_fma_f32 v50, 0xbeae86e6, v17, -v50
	v_fmac_f32_e32 v50, 0x3ee1c552, v18
	v_mul_f32_e32 v44, 0x3d64c772, v20
	v_fmamk_f32 v20, v20, 0x3d64c772, v16
	v_fma_f32 v16, 0xbf3bfb3b, v46, -v16
	s_delay_alu instid0(VALU_DEP_3) | instskip(SKIP_2) | instid1(VALU_DEP_1)
	v_fma_f32 v44, 0x3f3bfb3b, v46, -v44
	v_fmamk_f32 v46, v17, 0x3eae86e6, v48
	v_fma_f32 v48, 0x3f5ff5aa, v14, -v48
	v_dual_add_f32 v17, v43, v12 :: v_dual_fmac_f32 v48, 0x3ee1c552, v18
	s_delay_alu instid0(VALU_DEP_1) | instskip(NEXT) | instid1(VALU_DEP_4)
	v_sub_f32_e32 v15, v17, v48
	v_dual_add_f32 v17, v48, v17 :: v_dual_fmac_f32 v46, 0x3ee1c552, v18
	v_add_f32_e32 v30, v20, v13
	v_add_f32_e32 v20, v16, v13
	v_dual_add_f32 v18, v44, v13 :: v_dual_add_f32 v13, v50, v19
	s_delay_alu instid0(VALU_DEP_4) | instskip(NEXT) | instid1(VALU_DEP_4)
	v_add_f32_e32 v11, v46, v29
	v_dual_sub_f32 v29, v29, v46 :: v_dual_sub_f32 v12, v30, v45
	s_delay_alu instid0(VALU_DEP_4) | instskip(NEXT) | instid1(VALU_DEP_4)
	v_sub_f32_e32 v14, v20, v49
	v_add_f32_e32 v16, v47, v18
	v_dual_sub_f32 v18, v18, v47 :: v_dual_sub_f32 v19, v19, v50
	v_add_f32_e32 v20, v49, v20
	v_add_f32_e32 v30, v45, v30
	ds_store_2addr_b64 v55, v[9:10], v[11:12] offset1:120
	ds_store_2addr_b64 v56, v[13:14], v[15:16] offset0:112 offset1:232
	ds_store_2addr_b64 v57, v[17:18], v[19:20] offset0:96 offset1:216
	ds_store_b64 v55, v[29:30] offset:5760
	s_and_saveexec_b32 s14, vcc_lo
	s_cbranch_execz .LBB0_14
; %bb.13:
	v_and_b32_e32 v9, 0xff, v31
	s_delay_alu instid0(VALU_DEP_1) | instskip(NEXT) | instid1(VALU_DEP_1)
	v_mul_lo_u16 v9, 0xab, v9
	v_lshrrev_b16 v9, 11, v9
	s_delay_alu instid0(VALU_DEP_1) | instskip(NEXT) | instid1(VALU_DEP_1)
	v_mul_lo_u16 v9, v9, 12
	v_sub_nc_u16 v9, v31, v9
	s_delay_alu instid0(VALU_DEP_1) | instskip(NEXT) | instid1(VALU_DEP_1)
	v_and_b32_e32 v29, 0xff, v9
	v_mul_u32_u24_e32 v9, 6, v29
	s_delay_alu instid0(VALU_DEP_1)
	v_lshlrev_b32_e32 v17, 3, v9
	s_clause 0x2
	global_load_b128 v[9:12], v17, s[10:11] offset:80
	global_load_b128 v[13:16], v17, s[10:11] offset:112
	;; [unrolled: 1-line block ×3, first 2 shown]
	s_wait_loadcnt 0x2
	v_mul_f32_e32 v49, v26, v12
	s_wait_loadcnt 0x1
	v_mul_f32_e32 v46, v8, v16
	;; [unrolled: 2-line block ×3, first 2 shown]
	v_mul_u32_u24_e32 v29, 0x50, v29
	v_mul_f32_e32 v50, v6, v14
	v_mul_f32_e32 v45, v28, v10
	;; [unrolled: 1-line block ×4, first 2 shown]
	v_add3_u32 v29, 0, v29, v38
	v_fma_f32 v7, v7, v15, -v46
	v_mul_f32_e32 v47, v4, v20
	v_fma_f32 v27, v27, v9, -v45
	v_mul_f32_e32 v18, v1, v18
	v_add_nc_u32_e32 v30, 0x1800, v29
	v_add_nc_u32_e32 v43, 0x2000, v29
	v_fma_f32 v1, v1, v17, -v48
	v_fmac_f32_e32 v10, v28, v9
	v_add_nc_u32_e32 v44, 0x2800, v29
	v_fmac_f32_e32 v18, v2, v17
	v_mul_f32_e32 v14, v5, v14
	v_fma_f32 v5, v5, v13, -v50
	v_fmac_f32_e32 v16, v8, v15
	s_delay_alu instid0(VALU_DEP_3) | instskip(NEXT) | instid1(VALU_DEP_2)
	v_fmac_f32_e32 v14, v6, v13
	v_add_f32_e32 v8, v10, v16
	v_mul_f32_e32 v12, v25, v12
	v_fma_f32 v25, v25, v11, -v49
	s_delay_alu instid0(VALU_DEP_2) | instskip(SKIP_2) | instid1(VALU_DEP_3)
	v_fmac_f32_e32 v12, v26, v11
	v_mul_f32_e32 v20, v3, v20
	v_fma_f32 v3, v3, v19, -v47
	v_add_f32_e32 v11, v12, v14
	s_delay_alu instid0(VALU_DEP_3) | instskip(NEXT) | instid1(VALU_DEP_3)
	v_fmac_f32_e32 v20, v4, v19
	v_sub_f32_e32 v4, v3, v1
	v_sub_f32_e32 v6, v25, v5
	v_add_f32_e32 v1, v1, v3
	v_add_f32_e32 v3, v25, v5
	v_sub_f32_e32 v5, v10, v16
	v_add_f32_e32 v17, v11, v8
	v_dual_add_f32 v9, v18, v20 :: v_dual_sub_f32 v10, v20, v18
	s_delay_alu instid0(VALU_DEP_4) | instskip(NEXT) | instid1(VALU_DEP_2)
	v_sub_f32_e32 v19, v1, v3
	v_sub_f32_e32 v25, v5, v10
	;; [unrolled: 1-line block ×4, first 2 shown]
	v_add_f32_e32 v7, v27, v7
	s_delay_alu instid0(VALU_DEP_1)
	v_sub_f32_e32 v18, v7, v1
	v_sub_f32_e32 v16, v9, v11
	v_add_f32_e32 v20, v3, v7
	v_sub_f32_e32 v3, v3, v7
	v_sub_f32_e32 v15, v8, v9
	v_add_f32_e32 v9, v9, v17
	v_dual_mul_f32 v17, 0x3d64c772, v19 :: v_dual_sub_f32 v26, v10, v12
	v_add_f32_e32 v10, v10, v12
	v_sub_f32_e32 v14, v4, v6
	v_dual_sub_f32 v8, v11, v8 :: v_dual_sub_f32 v7, v12, v5
	s_delay_alu instid0(VALU_DEP_3) | instskip(NEXT) | instid1(VALU_DEP_3)
	v_dual_mul_f32 v12, 0x3f4a47b2, v15 :: v_dual_add_f32 v5, v10, v5
	v_mul_f32_e32 v11, 0xbf08b237, v14
	v_dual_sub_f32 v13, v2, v4 :: v_dual_add_f32 v4, v4, v6
	v_mul_f32_e32 v15, 0x3f4a47b2, v18
	s_delay_alu instid0(VALU_DEP_2) | instskip(NEXT) | instid1(VALU_DEP_2)
	v_dual_fmamk_f32 v27, v13, 0x3eae86e6, v11 :: v_dual_add_f32 v4, v4, v2
	v_fmamk_f32 v19, v19, 0x3d64c772, v15
	s_delay_alu instid0(VALU_DEP_2) | instskip(SKIP_3) | instid1(VALU_DEP_2)
	v_fmac_f32_e32 v27, 0x3ee1c552, v4
	v_add_f32_e32 v18, v1, v20
	v_mul_f32_e32 v20, 0xbf08b237, v26
	v_mul_f32_e32 v26, 0x3f5ff5aa, v7
	v_fma_f32 v7, 0x3f5ff5aa, v7, -v20
	s_delay_alu instid0(VALU_DEP_1) | instskip(SKIP_2) | instid1(VALU_DEP_1)
	v_fmac_f32_e32 v7, 0x3ee1c552, v5
	v_add_f32_e32 v1, v23, v18
	v_dual_fmamk_f32 v23, v25, 0x3eae86e6, v20 :: v_dual_sub_f32 v6, v6, v2
	v_fmac_f32_e32 v23, 0x3ee1c552, v5
	s_delay_alu instid0(VALU_DEP_2) | instskip(SKIP_1) | instid1(VALU_DEP_2)
	v_mul_f32_e32 v10, 0x3f5ff5aa, v6
	v_fma_f32 v11, 0x3f5ff5aa, v6, -v11
	v_fma_f32 v13, 0xbeae86e6, v13, -v10
	v_add_f32_e32 v2, v24, v9
	s_delay_alu instid0(VALU_DEP_1)
	v_dual_fmamk_f32 v6, v9, 0xbf955555, v2 :: v_dual_fmamk_f32 v9, v18, 0xbf955555, v1
	v_mul_f32_e32 v14, 0x3d64c772, v16
	v_fmamk_f32 v16, v16, 0x3d64c772, v12
	v_fma_f32 v10, 0xbf3bfb3b, v8, -v12
	v_fma_f32 v12, 0xbf3bfb3b, v3, -v15
	;; [unrolled: 1-line block ×4, first 2 shown]
	s_delay_alu instid0(VALU_DEP_3) | instskip(NEXT) | instid1(VALU_DEP_3)
	v_dual_add_f32 v17, v10, v6 :: v_dual_add_f32 v18, v12, v9
	v_add_f32_e32 v3, v3, v9
	v_fma_f32 v8, 0x3f3bfb3b, v8, -v14
	s_delay_alu instid0(VALU_DEP_4) | instskip(SKIP_1) | instid1(VALU_DEP_3)
	v_fmac_f32_e32 v15, 0x3ee1c552, v5
	v_fmac_f32_e32 v11, 0x3ee1c552, v4
	v_dual_fmac_f32 v13, 0x3ee1c552, v4 :: v_dual_add_f32 v10, v8, v6
	s_delay_alu instid0(VALU_DEP_1) | instskip(NEXT) | instid1(VALU_DEP_2)
	v_dual_sub_f32 v5, v18, v15 :: v_dual_sub_f32 v12, v17, v13
	v_sub_f32_e32 v8, v10, v11
	v_add_f32_e32 v10, v11, v10
	v_add_f32_e32 v11, v15, v18
	;; [unrolled: 1-line block ×4, first 2 shown]
	v_dual_add_f32 v6, v13, v17 :: v_dual_sub_f32 v9, v3, v7
	v_add_f32_e32 v7, v7, v3
	s_delay_alu instid0(VALU_DEP_3)
	v_dual_add_f32 v4, v27, v14 :: v_dual_sub_f32 v3, v16, v23
	v_dual_sub_f32 v14, v14, v27 :: v_dual_add_f32 v13, v23, v16
	ds_store_2addr_b64 v30, v[1:2], v[13:14] offset0:72 offset1:192
	ds_store_2addr_b64 v43, v[11:12], v[9:10] offset0:56 offset1:176
	;; [unrolled: 1-line block ×3, first 2 shown]
	ds_store_b64 v29, v[3:4] offset:12480
.LBB0_14:
	s_wait_alu 0xfffe
	s_or_b32 exec_lo, exec_lo, s14
	v_cmp_gt_u64_e32 vcc_lo, s[12:13], v[21:22]
	global_wb scope:SCOPE_SE
	s_wait_dscnt 0x0
	s_barrier_signal -1
	s_barrier_wait -1
	global_inv scope:SCOPE_SE
	s_or_b32 s12, s16, vcc_lo
	s_wait_alu 0xfffe
	s_and_saveexec_b32 s13, s12
	s_cbranch_execz .LBB0_16
; %bb.15:
	v_subrev_nc_u32_e32 v1, 42, v37
	v_cmp_gt_u32_e32 vcc_lo, 0x1a4, v0
	v_mov_b32_e32 v2, 0
	v_subrev_nc_u32_e32 v5, 56, v37
	s_load_b64 s[0:1], s[0:1], 0x8
	v_cndmask_b32_e32 v3, v1, v34, vcc_lo
	v_cmp_gt_u32_e32 vcc_lo, 0x230, v0
	v_mov_b32_e32 v4, v2
	v_mov_b32_e32 v6, v2
	v_lshrrev_b16 v1, 2, v36
	s_wait_alu 0xfffd
	v_dual_mov_b32 v20, v2 :: v_dual_cndmask_b32 v5, v5, v33
	v_lshlrev_b64_e32 v[7:8], 3, v[3:4]
	v_add_nc_u32_e32 v4, 0xffffffba, v37
	v_and_b32_e32 v1, 63, v1
	s_delay_alu instid0(VALU_DEP_4) | instskip(NEXT) | instid1(VALU_DEP_4)
	v_mul_lo_u32 v30, v21, v5
	v_add_co_u32 v11, vcc_lo, s10, v7
	s_wait_alu 0xfffd
	v_add_co_ci_u32_e32 v12, vcc_lo, s11, v8, vcc_lo
	v_mov_b32_e32 v7, v2
	v_lshlrev_b64_e32 v[9:10], 3, v[5:6]
	v_cmp_gt_u32_e32 vcc_lo, 0x2bc, v0
	global_load_b64 v[15:16], v[11:12], off offset:656
	v_mul_lo_u16 v1, v1, 49
	s_wait_alu 0xfffd
	v_cndmask_b32_e32 v6, v4, v31, vcc_lo
	v_add_co_u32 v8, vcc_lo, s10, v9
	s_wait_alu 0xfffd
	v_add_co_ci_u32_e32 v9, vcc_lo, s11, v10, vcc_lo
	v_cmp_gt_u32_e32 vcc_lo, 0x348, v0
	global_load_b64 v[17:18], v[8:9], off offset:656
	v_add_nc_u32_e32 v4, 0xffffffac, v37
	v_lshlrev_b64_e32 v[10:11], 3, v[6:7]
	s_wait_alu 0xfffd
	s_delay_alu instid0(VALU_DEP_2) | instskip(SKIP_1) | instid1(VALU_DEP_3)
	v_cndmask_b32_e32 v19, v4, v37, vcc_lo
	v_subrev_nc_u32_e32 v4, 28, v37
	v_add_co_u32 v7, vcc_lo, s10, v10
	s_wait_alu 0xfffd
	v_add_co_ci_u32_e32 v8, vcc_lo, s11, v11, vcc_lo
	v_lshlrev_b64_e32 v[9:10], 3, v[19:20]
	v_mul_lo_u32 v20, v21, v3
	v_mul_lo_u32 v37, v21, v6
	global_load_b64 v[22:23], v[7:8], off offset:656
	v_mul_lo_u32 v79, v21, v19
	v_add_co_u32 v7, vcc_lo, s10, v9
	s_wait_alu 0xfffd
	v_add_co_ci_u32_e32 v8, vcc_lo, s11, v10, vcc_lo
	v_cmp_gt_u32_e32 vcc_lo, 0x118, v0
	v_lshrrev_b16 v9, 10, v1
	v_lshrrev_b32_e32 v10, 5, v37
	global_load_b64 v[24:25], v[7:8], off offset:656
	s_wait_alu 0xfffd
	v_cndmask_b32_e32 v1, v4, v35, vcc_lo
	v_mul_lo_u16 v4, 0x54, v9
	v_and_b32_e32 v9, 0xff, v30
	s_delay_alu instid0(VALU_DEP_3) | instskip(NEXT) | instid1(VALU_DEP_3)
	v_lshlrev_b64_e32 v[7:8], 3, v[1:2]
	v_sub_nc_u16 v2, v36, v4
	s_delay_alu instid0(VALU_DEP_2) | instskip(SKIP_1) | instid1(VALU_DEP_3)
	v_add_co_u32 v7, vcc_lo, s10, v7
	s_wait_alu 0xfffd
	v_add_co_ci_u32_e32 v8, vcc_lo, s11, v8, vcc_lo
	s_delay_alu instid0(VALU_DEP_3)
	v_and_b32_e32 v2, 0xff, v2
	v_add_nc_u32_e32 v11, 0x54, v1
	v_cmp_lt_u32_e32 vcc_lo, 0x347, v0
	global_load_b64 v[26:27], v[7:8], off offset:656
	v_lshlrev_b32_e32 v4, 3, v2
	v_mul_lo_u32 v80, v21, v11
	s_wait_alu 0xfffd
	v_cndmask_b32_e64 v0, 0, 0xa8, vcc_lo
	global_load_b64 v[28:29], v4, s[10:11] offset:656
	v_mul_lo_u32 v4, v21, v1
	s_delay_alu instid0(VALU_DEP_1) | instskip(SKIP_2) | instid1(VALU_DEP_3)
	v_and_b32_e32 v7, 0xff, v4
	v_lshrrev_b32_e32 v8, 5, v4
	v_lshrrev_b32_e32 v4, 13, v4
	v_lshlrev_b32_e32 v7, 3, v7
	s_delay_alu instid0(VALU_DEP_3)
	v_and_b32_e32 v8, 0x7f8, v8
	s_wait_kmcnt 0x0
	s_clause 0x1
	global_load_b64 v[43:44], v7, s[0:1]
	global_load_b64 v[45:46], v8, s[0:1] offset:2048
	v_and_b32_e32 v7, 0xff, v20
	v_lshrrev_b32_e32 v8, 5, v20
	v_and_b32_e32 v4, 0x7f8, v4
	s_delay_alu instid0(VALU_DEP_3) | instskip(NEXT) | instid1(VALU_DEP_3)
	v_lshlrev_b32_e32 v7, 3, v7
	v_and_b32_e32 v8, 0x7f8, v8
	s_clause 0x1
	global_load_b64 v[47:48], v7, s[0:1]
	global_load_b64 v[49:50], v8, s[0:1] offset:2048
	v_lshrrev_b32_e32 v7, 5, v30
	v_lshlrev_b32_e32 v8, 3, v9
	v_and_b32_e32 v9, 0xff, v37
	s_delay_alu instid0(VALU_DEP_3)
	v_and_b32_e32 v7, 0x7f8, v7
	s_clause 0x1
	global_load_b64 v[51:52], v8, s[0:1]
	global_load_b64 v[53:54], v7, s[0:1] offset:2048
	v_lshlrev_b32_e32 v7, 3, v9
	v_and_b32_e32 v9, 0xff, v79
	v_and_b32_e32 v8, 0x7f8, v10
	v_lshrrev_b32_e32 v10, 5, v79
	s_clause 0x1
	global_load_b64 v[55:56], v7, s[0:1]
	global_load_b64 v[57:58], v8, s[0:1] offset:2048
	v_lshlrev_b32_e32 v7, 3, v9
	v_and_b32_e32 v8, 0x7f8, v10
	s_clause 0x1
	global_load_b64 v[59:60], v7, s[0:1]
	global_load_b64 v[61:62], v8, s[0:1] offset:2048
	v_add_nc_u32_e32 v7, 0x54, v3
	v_and_b32_e32 v9, 0xff, v80
	v_lshrrev_b32_e32 v10, 5, v80
	s_delay_alu instid0(VALU_DEP_3) | instskip(SKIP_1) | instid1(VALU_DEP_4)
	v_mul_lo_u32 v81, v21, v7
	v_add_nc_u32_e32 v7, 0x54, v5
	v_lshlrev_b32_e32 v8, 3, v9
	s_delay_alu instid0(VALU_DEP_4)
	v_and_b32_e32 v9, 0x7f8, v10
	s_clause 0x1
	global_load_b64 v[63:64], v8, s[0:1]
	global_load_b64 v[65:66], v9, s[0:1] offset:2048
	v_mul_lo_u32 v82, v21, v7
	v_and_b32_e32 v7, 0xff, v81
	v_lshrrev_b32_e32 v8, 5, v81
	v_add_nc_u32_e32 v9, 0x54, v6
	s_delay_alu instid0(VALU_DEP_3) | instskip(NEXT) | instid1(VALU_DEP_3)
	v_lshlrev_b32_e32 v7, 3, v7
	v_and_b32_e32 v8, 0x7f8, v8
	v_and_b32_e32 v10, 0xff, v82
	v_lshrrev_b32_e32 v11, 5, v82
	v_mul_lo_u32 v83, v21, v9
	s_clause 0x1
	global_load_b64 v[67:68], v7, s[0:1]
	global_load_b64 v[69:70], v8, s[0:1] offset:2048
	v_lshlrev_b32_e32 v7, 3, v10
	v_and_b32_e32 v8, 0x7f8, v11
	s_clause 0x1
	global_load_b64 v[71:72], v7, s[0:1]
	global_load_b64 v[73:74], v8, s[0:1] offset:2048
	v_and_b32_e32 v7, 0xff, v83
	v_lshrrev_b32_e32 v8, 5, v83
	v_add_nc_u32_e32 v11, 0x1800, v39
	s_delay_alu instid0(VALU_DEP_3) | instskip(NEXT) | instid1(VALU_DEP_3)
	v_lshlrev_b32_e32 v7, 3, v7
	v_and_b32_e32 v8, 0x7f8, v8
	s_clause 0x1
	global_load_b64 v[75:76], v7, s[0:1]
	global_load_b64 v[77:78], v8, s[0:1] offset:2048
	v_add_nc_u32_e32 v7, 0x2000, v39
	ds_load_2addr_b64 v[11:14], v11 offset0:72 offset1:212
	ds_load_2addr_b64 v[7:10], v7 offset0:96 offset1:236
	s_wait_loadcnt_dscnt 0x1700
	v_mul_f32_e32 v84, v16, v9
	v_mul_f32_e32 v16, v16, v10
	s_delay_alu instid0(VALU_DEP_2) | instskip(NEXT) | instid1(VALU_DEP_2)
	v_fmac_f32_e32 v84, v15, v10
	v_fma_f32 v85, v15, v9, -v16
	s_wait_loadcnt 0x16
	v_mul_f32_e32 v9, v18, v8
	v_mul_f32_e32 v86, v18, v7
	s_delay_alu instid0(VALU_DEP_2) | instskip(NEXT) | instid1(VALU_DEP_2)
	v_fma_f32 v87, v17, v7, -v9
	v_dual_fmac_f32 v86, v17, v8 :: v_dual_add_nc_u32 v7, 0x2a00, v39
	v_lshrrev_b32_e32 v17, 13, v37
	ds_load_2addr_b64 v[7:10], v7 offset0:56 offset1:196
	v_and_b32_e32 v17, 0x7f8, v17
	s_wait_loadcnt 0x15
	v_mul_f32_e32 v15, v23, v14
	v_mul_f32_e32 v88, v23, v13
	s_delay_alu instid0(VALU_DEP_2) | instskip(NEXT) | instid1(VALU_DEP_2)
	v_fma_f32 v89, v22, v13, -v15
	v_fmac_f32_e32 v88, v22, v14
	v_lshrrev_b32_e32 v15, 13, v30
	v_lshrrev_b32_e32 v22, 13, v81
	s_wait_loadcnt 0x14
	v_mul_f32_e32 v13, v25, v12
	v_mul_f32_e32 v90, v25, v11
	s_delay_alu instid0(VALU_DEP_2) | instskip(NEXT) | instid1(VALU_DEP_2)
	v_fma_f32 v91, v24, v11, -v13
	v_dual_fmac_f32 v90, v24, v12 :: v_dual_add_nc_u32 v11, 0x54, v19
	v_lshrrev_b32_e32 v13, 13, v20
	v_lshrrev_b32_e32 v20, 13, v80
	;; [unrolled: 1-line block ×3, first 2 shown]
	s_delay_alu instid0(VALU_DEP_4) | instskip(SKIP_1) | instid1(VALU_DEP_1)
	v_mul_lo_u32 v92, v21, v11
	s_wait_loadcnt_dscnt 0x1300
	v_dual_mul_f32 v93, v27, v7 :: v_dual_and_b32 v12, 0xff, v92
	v_mul_f32_e32 v11, v27, v8
	v_lshrrev_b32_e32 v14, 5, v92
	s_delay_alu instid0(VALU_DEP_3) | instskip(NEXT) | instid1(VALU_DEP_3)
	v_fmac_f32_e32 v93, v26, v8
	v_fma_f32 v94, v26, v7, -v11
	s_wait_loadcnt 0x12
	v_mul_f32_e32 v95, v9, v29
	v_dual_mul_f32 v7, v10, v29 :: v_dual_lshlrev_b32 v8, 3, v12
	v_and_b32_e32 v11, 0x7f8, v14
	v_lshrrev_b32_e32 v29, 13, v83
	s_delay_alu instid0(VALU_DEP_4) | instskip(NEXT) | instid1(VALU_DEP_4)
	v_fmac_f32_e32 v95, v10, v28
	v_fma_f32 v96, v9, v28, -v7
	s_clause 0x2
	global_load_b64 v[7:8], v8, s[0:1]
	global_load_b64 v[9:10], v11, s[0:1] offset:2048
	global_load_b64 v[11:12], v4, s[0:1] offset:4096
	v_and_b32_e32 v4, 0x7f8, v13
	global_load_b64 v[17:18], v17, s[0:1] offset:4096
	v_and_b32_e32 v26, 0x7f8, v22
	v_lshrrev_b32_e32 v28, 13, v82
	global_load_b64 v[13:14], v4, s[0:1] offset:4096
	v_and_b32_e32 v4, 0x7f8, v15
	v_and_b32_e32 v28, 0x7f8, v28
	global_load_b64 v[15:16], v4, s[0:1] offset:4096
	s_wait_loadcnt 0x16
	v_mul_f32_e32 v30, v43, v46
	s_delay_alu instid0(VALU_DEP_1)
	v_fmac_f32_e32 v30, v44, v45
	s_wait_loadcnt 0x14
	v_dual_mul_f32 v25, v48, v50 :: v_dual_and_b32 v20, 0x7f8, v20
	global_load_b64 v[22:23], v20, s[0:1] offset:4096
	v_dual_mul_f32 v37, v47, v50 :: v_dual_and_b32 v20, 0x7f8, v24
	v_mul_f32_e32 v4, v44, v46
	v_fma_f32 v79, v47, v49, -v25
	s_clause 0x1
	global_load_b64 v[24:25], v26, s[0:1] offset:4096
	global_load_b64 v[26:27], v20, s[0:1] offset:4096
	v_fmac_f32_e32 v37, v48, v49
	v_fma_f32 v4, v43, v45, -v4
	s_wait_loadcnt 0x15
	v_mul_f32_e32 v20, v52, v54
	v_mul_f32_e32 v80, v51, v54
	v_lshrrev_b32_e32 v43, 13, v92
	v_and_b32_e32 v44, 0x7f8, v29
	s_delay_alu instid0(VALU_DEP_4) | instskip(NEXT) | instid1(VALU_DEP_4)
	v_fma_f32 v81, v51, v53, -v20
	v_fmac_f32_e32 v80, v52, v53
	s_wait_loadcnt 0x13
	v_mul_f32_e32 v20, v56, v58
	v_mul_f32_e32 v58, v55, v58
	v_mul_lo_u32 v53, v21, v2
	v_add_nc_u32_e32 v51, 0x54, v2
	v_and_b32_e32 v45, 0x7f8, v43
	v_fma_f32 v82, v55, v57, -v20
	v_fmac_f32_e32 v58, v56, v57
	s_wait_loadcnt 0x11
	v_mul_f32_e32 v20, v60, v62
	v_mul_f32_e32 v57, v59, v62
	v_mul_lo_u32 v54, v21, v51
	v_lshrrev_b32_e32 v47, 5, v53
	s_clause 0x1
	global_load_b64 v[28:29], v28, s[0:1] offset:4096
	global_load_b64 v[43:44], v44, s[0:1] offset:4096
	v_fma_f32 v59, v59, v61, -v20
	v_fmac_f32_e32 v57, v60, v61
	v_sub_nc_u32_e32 v2, v36, v2
	v_and_b32_e32 v21, 0xff, v54
	s_wait_loadcnt 0x11
	v_mul_f32_e32 v48, v64, v66
	v_mul_f32_e32 v60, v63, v66
	s_delay_alu instid0(VALU_DEP_2) | instskip(SKIP_1) | instid1(VALU_DEP_3)
	v_fma_f32 v61, v63, v65, -v48
	v_and_b32_e32 v20, 0xff, v53
	v_fmac_f32_e32 v60, v64, v65
	v_lshrrev_b32_e32 v53, 13, v53
	s_wait_loadcnt 0xf
	s_delay_alu instid0(VALU_DEP_1) | instskip(NEXT) | instid1(VALU_DEP_1)
	v_dual_mul_f32 v62, v67, v70 :: v_dual_and_b32 v53, 0x7f8, v53
	v_fmac_f32_e32 v62, v68, v69
	s_wait_loadcnt 0xd
	v_mul_f32_e32 v51, v72, v74
	v_mul_f32_e32 v64, v71, v74
	s_delay_alu instid0(VALU_DEP_2) | instskip(SKIP_1) | instid1(VALU_DEP_3)
	v_fma_f32 v65, v71, v73, -v51
	v_lshlrev_b32_e32 v20, 3, v20
	v_fmac_f32_e32 v64, v72, v73
	s_wait_loadcnt 0xb
	v_dual_mul_f32 v66, v75, v78 :: v_dual_and_b32 v49, 0x7f8, v47
	global_load_b64 v[45:46], v45, s[0:1] offset:4096
	v_mul_f32_e32 v55, v76, v78
	v_fmac_f32_e32 v66, v76, v77
	s_clause 0x1
	global_load_b64 v[47:48], v20, s[0:1]
	global_load_b64 v[49:50], v49, s[0:1] offset:2048
	v_mul_f32_e32 v20, v68, v70
	v_mul_i32_i24_e32 v70, 0x50, v36
	s_delay_alu instid0(VALU_DEP_2) | instskip(SKIP_4) | instid1(VALU_DEP_3)
	v_fma_f32 v63, v67, v69, -v20
	v_lshrrev_b32_e32 v20, 5, v54
	v_lshrrev_b32_e32 v54, 13, v54
	v_fma_f32 v67, v75, v77, -v55
	v_add3_u32 v70, 0, v70, v38
	v_and_b32_e32 v56, 0x7f8, v54
	s_wait_loadcnt 0xc
	v_mul_f32_e32 v69, v7, v10
	v_mul_f32_e32 v68, v8, v10
	s_wait_loadcnt 0xb
	v_mul_f32_e32 v10, v30, v12
	s_wait_loadcnt 0xa
	v_dual_mul_f32 v76, v82, v18 :: v_dual_mul_f32 v71, v4, v12
	v_dual_fmac_f32 v69, v8, v9 :: v_dual_and_b32 v52, 0x7f8, v20
	s_wait_loadcnt 0x9
	v_mul_f32_e32 v12, v37, v14
	s_delay_alu instid0(VALU_DEP_3)
	v_fmac_f32_e32 v76, v17, v58
	v_mul_f32_e32 v72, v79, v14
	v_fma_f32 v68, v7, v9, -v68
	v_mul_i32_i24_e32 v9, 0x50, v34
	s_wait_loadcnt 0x8
	v_dual_fmac_f32 v71, v11, v30 :: v_dual_mul_f32 v14, v80, v16
	v_dual_mul_f32 v74, v81, v16 :: v_dual_lshlrev_b32 v21, 3, v21
	s_clause 0x3
	global_load_b64 v[20:21], v21, s[0:1]
	global_load_b64 v[51:52], v52, s[0:1] offset:2048
	global_load_b64 v[53:54], v53, s[0:1] offset:4096
	global_load_b64 v[55:56], v56, s[0:1] offset:4096
	v_add3_u32 v30, 0, v9, v38
	v_mul_f32_e32 v16, v58, v18
	v_fma_f32 v4, v11, v4, -v10
	ds_load_b64 v[7:8], v41
	v_fma_f32 v73, v13, v79, -v12
	ds_load_b64 v[9:10], v42
	ds_load_b32 v42, v42
	ds_load_b64 v[11:12], v30
	v_fma_f32 v75, v15, v81, -v14
	v_fmac_f32_e32 v74, v15, v80
	v_fma_f32 v77, v17, v82, -v16
	ds_load_b32 v41, v41
	ds_load_b64 v[15:16], v40
	ds_load_b64 v[17:18], v39
	v_fmac_f32_e32 v72, v13, v37
	v_mad_co_u64_u32 v[13:14], null, s4, v32, 0
	s_lshl_b64 s[0:1], s[6:7], 3
	s_delay_alu instid0(SALU_CYCLE_1) | instskip(SKIP_4) | instid1(VALU_DEP_3)
	s_add_nc_u64 s[0:1], s[8:9], s[0:1]
	s_wait_dscnt 0x3
	v_dual_sub_f32 v79, v10, v86 :: v_dual_sub_f32 v78, v11, v85
	v_add_nc_u32_e32 v58, v19, v0
	s_wait_dscnt 0x1
	v_dual_sub_f32 v81, v16, v88 :: v_dual_mov_b32 v0, v14
	s_wait_loadcnt 0x9
	v_mul_f32_e32 v86, v59, v27
	ds_load_b32 v14, v40
	ds_load_b32 v19, v30
	;; [unrolled: 1-line block ×3, first 2 shown]
	s_wait_dscnt 0x3
	v_dual_sub_f32 v83, v18, v90 :: v_dual_sub_f32 v82, v15, v89
	v_mad_co_u64_u32 v[37:38], null, s5, v32, v[0:1]
	v_sub_f32_e32 v32, v12, v84
	v_sub_f32_e32 v84, v17, v91
	v_fma_f32 v17, v10, 2.0, -v79
	v_mul_f32_e32 v10, v57, v27
	ds_load_b64 v[38:39], v70
	v_fmac_f32_e32 v86, v26, v57
	v_sub_f32_e32 v70, v7, v94
	v_fma_f32 v40, v12, 2.0, -v32
	v_fma_f32 v59, v26, v59, -v10
	v_mul_f32_e32 v26, v63, v25
	v_mul_f32_e32 v12, v60, v23
	v_dual_mul_f32 v27, v61, v23 :: v_dual_mul_f32 v10, v62, v25
	v_fma_f32 v85, v18, 2.0, -v83
	s_delay_alu instid0(VALU_DEP_4)
	v_fmac_f32_e32 v26, v24, v62
	s_wait_dscnt 0x2
	v_fma_f32 v15, v19, 2.0, -v78
	v_fmac_f32_e32 v27, v22, v60
	s_wait_loadcnt 0x7
	v_mul_f32_e32 v18, v66, v44
	v_fma_f32 v14, v14, 2.0, -v82
	v_dual_mul_f32 v25, v78, v26 :: v_dual_sub_f32 v80, v9, v87
	v_fma_f32 v9, v41, 2.0, -v70
	v_fma_f32 v41, v16, 2.0, -v81
	v_mul_f32_e32 v16, v64, v29
	v_mul_f32_e32 v29, v65, v29
	v_fma_f32 v19, v42, 2.0, -v80
	v_fma_f32 v42, v22, v61, -v12
	v_mul_f32_e32 v22, v67, v44
	v_fma_f32 v44, v24, v63, -v10
	v_fma_f32 v57, v28, v65, -v16
	;; [unrolled: 1-line block ×3, first 2 shown]
	s_wait_dscnt 0x0
	v_dual_sub_f32 v63, v38, v96 :: v_dual_fmac_f32 v22, v43, v66
	s_wait_loadcnt 0x6
	v_mul_f32_e32 v23, v69, v46
	v_dual_mul_f32 v46, v68, v46 :: v_dual_mul_f32 v43, v41, v76
	v_fmac_f32_e32 v29, v28, v64
	v_mul_f32_e32 v18, v14, v76
	s_delay_alu instid0(VALU_DEP_4) | instskip(NEXT) | instid1(VALU_DEP_4)
	v_fma_f32 v62, v45, v68, -v23
	v_dual_fmac_f32 v46, v45, v69 :: v_dual_sub_f32 v45, v39, v95
	v_dual_mul_f32 v23, v70, v27 :: v_dual_mul_f32 v16, v19, v74
	v_mul_f32_e32 v28, v17, v74
	v_mul_f32_e32 v10, v9, v71
	;; [unrolled: 1-line block ×4, first 2 shown]
	v_fmac_f32_e32 v16, v17, v75
	v_fma_f32 v17, v14, v77, -v43
	v_fma_f32 v14, v39, 2.0, -v45
	s_wait_loadcnt 0x4
	v_mul_f32_e32 v64, v48, v50
	v_mul_f32_e32 v50, v47, v50
	v_fmac_f32_e32 v18, v41, v77
	v_fma_f32 v38, v38, 2.0, -v63
	v_fmac_f32_e32 v12, v40, v73
	v_fma_f32 v41, v47, v49, -v64
	v_fmac_f32_e32 v50, v48, v49
	s_wait_loadcnt 0x2
	v_mul_f32_e32 v39, v20, v52
	s_delay_alu instid0(VALU_DEP_1) | instskip(NEXT) | instid1(VALU_DEP_1)
	v_dual_fmac_f32 v39, v21, v51 :: v_dual_sub_f32 v0, v8, v93
	v_fma_f32 v11, v8, 2.0, -v0
	v_mul_f32_e32 v65, v0, v27
	v_mul_f32_e32 v27, v80, v29
	v_mad_co_u64_u32 v[7:8], null, s2, v58, 0
	s_delay_alu instid0(VALU_DEP_4)
	v_mul_f32_e32 v24, v11, v71
	v_fmac_f32_e32 v10, v11, v4
	v_fma_f32 v11, v15, v73, -v60
	v_fma_f32 v15, v19, v75, -v28
	v_mul_f32_e32 v28, v21, v52
	v_fma_f32 v9, v9, v4, -v24
	v_dual_fmac_f32 v27, v79, v57 :: v_dual_mul_f32 v4, v32, v26
	v_dual_mul_f32 v26, v79, v29 :: v_dual_mul_f32 v29, v82, v22
	v_fmac_f32_e32 v23, v0, v42
	v_fma_f32 v0, v20, v51, -v28
	v_fmac_f32_e32 v25, v32, v44
	s_wait_loadcnt 0x0
	v_mul_f32_e32 v32, v39, v56
	v_fma_f32 v24, v78, v44, -v4
	v_dual_mul_f32 v4, v41, v54 :: v_dual_mul_f32 v21, v0, v56
	v_mul_f32_e32 v19, v81, v22
	v_fma_f32 v22, v70, v42, -v65
	v_mul_f32_e32 v20, v50, v54
	v_fma_f32 v0, v55, v0, -v32
	v_dual_fmac_f32 v21, v55, v39 :: v_dual_fmac_f32 v4, v53, v50
	v_fma_f32 v28, v82, v61, -v19
	s_delay_alu instid0(VALU_DEP_4) | instskip(SKIP_1) | instid1(VALU_DEP_4)
	v_fma_f32 v19, v53, v41, -v20
	v_fma_f32 v30, v30, 2.0, -v84
	v_mul_f32_e32 v42, v63, v21
	v_dual_mul_f32 v21, v45, v21 :: v_dual_mul_f32 v20, v38, v4
	v_mul_f32_e32 v4, v14, v4
	v_mul_f32_e32 v40, v84, v46
	s_delay_alu instid0(VALU_DEP_4) | instskip(NEXT) | instid1(VALU_DEP_4)
	v_fmac_f32_e32 v42, v45, v0
	v_fma_f32 v41, v63, v0, -v21
	v_dual_mov_b32 v0, v8 :: v_dual_add_nc_u32 v21, 0x54, v58
	v_fmac_f32_e32 v20, v14, v19
	v_mov_b32_e32 v14, v37
	v_fma_f32 v19, v38, v19, -v4
	s_delay_alu instid0(VALU_DEP_4)
	v_mad_co_u64_u32 v[43:44], null, s3, v58, v[0:1]
	v_mad_co_u64_u32 v[44:45], null, s2, v21, 0
	v_mul_f32_e32 v4, v85, v86
	v_lshlrev_b64_e32 v[13:14], 3, v[13:14]
	v_mul_f32_e32 v46, v83, v46
	v_mul_f32_e32 v38, v30, v86
	v_mov_b32_e32 v8, v43
	v_fma_f32 v37, v30, v59, -v4
	v_sub_nc_u32_e32 v4, v31, v6
	v_mov_b32_e32 v0, v45
	v_add_co_u32 v43, vcc_lo, s0, v13
	v_fma_f32 v39, v84, v62, -v46
	s_delay_alu instid0(VALU_DEP_4)
	v_add_nc_u32_e32 v4, v4, v31
	s_wait_alu 0xfffd
	v_add_co_ci_u32_e32 v46, vcc_lo, s1, v14, vcc_lo
	v_lshlrev_b64_e32 v[6:7], 3, v[7:8]
	v_mad_co_u64_u32 v[13:14], null, s3, v21, v[0:1]
	v_mad_co_u64_u32 v[30:31], null, s2, v4, 0
	v_add_nc_u32_e32 v8, 0x54, v4
	s_delay_alu instid0(VALU_DEP_4)
	v_add_co_u32 v6, vcc_lo, v43, v6
	v_fmac_f32_e32 v38, v85, v59
	s_wait_alu 0xfffd
	v_add_co_ci_u32_e32 v7, vcc_lo, v46, v7, vcc_lo
	v_mov_b32_e32 v45, v13
	v_mad_co_u64_u32 v[13:14], null, s2, v8, 0
	v_mov_b32_e32 v0, v31
	global_store_b64 v[6:7], v[37:38], off
	v_lshlrev_b64_e32 v[6:7], 3, v[44:45]
	v_dual_fmac_f32 v40, v83, v62 :: v_dual_fmac_f32 v29, v81, v61
	v_mad_co_u64_u32 v[31:32], null, s3, v4, v[0:1]
	v_mov_b32_e32 v0, v14
	v_sub_nc_u32_e32 v14, v33, v5
	v_add_co_u32 v4, vcc_lo, v43, v6
	s_wait_alu 0xfffd
	v_add_co_ci_u32_e32 v5, vcc_lo, v46, v7, vcc_lo
	v_mad_co_u64_u32 v[6:7], null, s3, v8, v[0:1]
	v_add_nc_u32_e32 v21, v14, v33
	global_store_b64 v[4:5], v[39:40], off
	v_lshlrev_b64_e32 v[4:5], 3, v[30:31]
	v_sub_nc_u32_e32 v33, v34, v3
	v_fma_f32 v26, v80, v57, -v26
	v_add_nc_u32_e32 v32, 0x54, v21
	v_mov_b32_e32 v14, v6
	v_mad_co_u64_u32 v[6:7], null, s2, v21, 0
	v_add_co_u32 v3, vcc_lo, v43, v4
	s_delay_alu instid0(VALU_DEP_4) | instskip(SKIP_2) | instid1(VALU_DEP_4)
	v_mad_co_u64_u32 v[30:31], null, s2, v32, 0
	s_wait_alu 0xfffd
	v_add_co_ci_u32_e32 v4, vcc_lo, v46, v5, vcc_lo
	v_mov_b32_e32 v0, v7
	v_lshlrev_b64_e32 v[7:8], 3, v[13:14]
	v_add_nc_u32_e32 v34, v33, v34
	global_store_b64 v[3:4], v[17:18], off
	v_mov_b32_e32 v5, v31
	v_mad_co_u64_u32 v[13:14], null, s3, v21, v[0:1]
	v_add_co_u32 v37, vcc_lo, v43, v7
	s_delay_alu instid0(VALU_DEP_3) | instskip(SKIP_1) | instid1(VALU_DEP_4)
	v_mad_co_u64_u32 v[31:32], null, s3, v32, v[5:6]
	v_mad_co_u64_u32 v[32:33], null, s2, v34, 0
	v_mov_b32_e32 v7, v13
	s_wait_alu 0xfffd
	v_add_co_ci_u32_e32 v38, vcc_lo, v46, v8, vcc_lo
	v_add_nc_u32_e32 v8, 0x54, v34
	s_delay_alu instid0(VALU_DEP_3)
	v_lshlrev_b64_e32 v[3:4], 3, v[6:7]
	v_mov_b32_e32 v0, v33
	global_store_b64 v[37:38], v[28:29], off
	v_mad_co_u64_u32 v[13:14], null, s2, v8, 0
	v_add_co_u32 v3, vcc_lo, v43, v3
	v_mad_co_u64_u32 v[5:6], null, s3, v34, v[0:1]
	s_wait_alu 0xfffd
	v_add_co_ci_u32_e32 v4, vcc_lo, v46, v4, vcc_lo
	v_lshlrev_b64_e32 v[6:7], 3, v[30:31]
	global_store_b64 v[3:4], v[15:16], off
	v_sub_nc_u32_e32 v4, v35, v1
	v_mov_b32_e32 v33, v5
	v_add_co_u32 v5, vcc_lo, v43, v6
	v_mov_b32_e32 v3, v14
	s_wait_alu 0xfffd
	v_add_co_ci_u32_e32 v6, vcc_lo, v46, v7, vcc_lo
	v_add_nc_u32_e32 v15, v4, v35
	v_lshlrev_b64_e32 v[0:1], 3, v[32:33]
	v_mad_co_u64_u32 v[3:4], null, s3, v8, v[3:4]
	global_store_b64 v[5:6], v[26:27], off
	v_mad_co_u64_u32 v[4:5], null, s2, v15, 0
	v_add_co_u32 v0, vcc_lo, v43, v0
	s_wait_alu 0xfffd
	v_add_co_ci_u32_e32 v1, vcc_lo, v46, v1, vcc_lo
	v_add_nc_u32_e32 v8, 0x54, v15
	v_add_nc_u32_e32 v16, v2, v36
	v_mov_b32_e32 v2, v5
	global_store_b64 v[0:1], v[11:12], off
	v_mov_b32_e32 v14, v3
	v_mad_co_u64_u32 v[0:1], null, s2, v8, 0
	v_mad_co_u64_u32 v[2:3], null, s3, v15, v[2:3]
	;; [unrolled: 1-line block ×3, first 2 shown]
	v_add_nc_u32_e32 v17, 0x54, v16
	v_lshlrev_b64_e32 v[11:12], 3, v[13:14]
	s_delay_alu instid0(VALU_DEP_4) | instskip(SKIP_1) | instid1(VALU_DEP_4)
	v_mov_b32_e32 v5, v2
	v_mad_co_u64_u32 v[13:14], null, s3, v8, v[1:2]
	v_mad_co_u64_u32 v[14:15], null, s2, v17, 0
	v_mov_b32_e32 v3, v7
	v_add_co_u32 v7, vcc_lo, v43, v11
	s_wait_alu 0xfffd
	v_add_co_ci_u32_e32 v8, vcc_lo, v46, v12, vcc_lo
	s_delay_alu instid0(VALU_DEP_3)
	v_mad_co_u64_u32 v[2:3], null, s3, v16, v[3:4]
	v_lshlrev_b64_e32 v[4:5], 3, v[4:5]
	v_mov_b32_e32 v3, v15
	v_mov_b32_e32 v1, v13
	global_store_b64 v[7:8], v[24:25], off
	v_mad_co_u64_u32 v[11:12], null, s3, v17, v[3:4]
	v_mov_b32_e32 v7, v2
	v_lshlrev_b64_e32 v[0:1], 3, v[0:1]
	v_add_co_u32 v2, vcc_lo, v43, v4
	s_wait_alu 0xfffd
	v_add_co_ci_u32_e32 v3, vcc_lo, v46, v5, vcc_lo
	v_mov_b32_e32 v15, v11
	v_lshlrev_b64_e32 v[4:5], 3, v[6:7]
	v_add_co_u32 v0, vcc_lo, v43, v0
	s_wait_alu 0xfffd
	v_add_co_ci_u32_e32 v1, vcc_lo, v46, v1, vcc_lo
	v_lshlrev_b64_e32 v[6:7], 3, v[14:15]
	s_delay_alu instid0(VALU_DEP_4) | instskip(SKIP_2) | instid1(VALU_DEP_3)
	v_add_co_u32 v4, vcc_lo, v43, v4
	s_wait_alu 0xfffd
	v_add_co_ci_u32_e32 v5, vcc_lo, v46, v5, vcc_lo
	v_add_co_u32 v6, vcc_lo, v43, v6
	s_wait_alu 0xfffd
	v_add_co_ci_u32_e32 v7, vcc_lo, v46, v7, vcc_lo
	s_clause 0x3
	global_store_b64 v[2:3], v[9:10], off
	global_store_b64 v[0:1], v[22:23], off
	global_store_b64 v[4:5], v[19:20], off
	global_store_b64 v[6:7], v[41:42], off
.LBB0_16:
	s_nop 0
	s_sendmsg sendmsg(MSG_DEALLOC_VGPRS)
	s_endpgm
	.section	.rodata,"a",@progbits
	.p2align	6, 0x0
	.amdhsa_kernel fft_rtc_fwd_len168_factors_2_6_7_2_wgs_140_tpt_14_dim2_sp_ip_CI_sbcc_twdbase8_3step_dirReg
		.amdhsa_group_segment_fixed_size 0
		.amdhsa_private_segment_fixed_size 0
		.amdhsa_kernarg_size 88
		.amdhsa_user_sgpr_count 2
		.amdhsa_user_sgpr_dispatch_ptr 0
		.amdhsa_user_sgpr_queue_ptr 0
		.amdhsa_user_sgpr_kernarg_segment_ptr 1
		.amdhsa_user_sgpr_dispatch_id 0
		.amdhsa_user_sgpr_private_segment_size 0
		.amdhsa_wavefront_size32 1
		.amdhsa_uses_dynamic_stack 0
		.amdhsa_enable_private_segment 0
		.amdhsa_system_sgpr_workgroup_id_x 1
		.amdhsa_system_sgpr_workgroup_id_y 0
		.amdhsa_system_sgpr_workgroup_id_z 0
		.amdhsa_system_sgpr_workgroup_info 0
		.amdhsa_system_vgpr_workitem_id 0
		.amdhsa_next_free_vgpr 97
		.amdhsa_next_free_sgpr 23
		.amdhsa_reserve_vcc 1
		.amdhsa_float_round_mode_32 0
		.amdhsa_float_round_mode_16_64 0
		.amdhsa_float_denorm_mode_32 3
		.amdhsa_float_denorm_mode_16_64 3
		.amdhsa_fp16_overflow 0
		.amdhsa_workgroup_processor_mode 1
		.amdhsa_memory_ordered 1
		.amdhsa_forward_progress 0
		.amdhsa_round_robin_scheduling 0
		.amdhsa_exception_fp_ieee_invalid_op 0
		.amdhsa_exception_fp_denorm_src 0
		.amdhsa_exception_fp_ieee_div_zero 0
		.amdhsa_exception_fp_ieee_overflow 0
		.amdhsa_exception_fp_ieee_underflow 0
		.amdhsa_exception_fp_ieee_inexact 0
		.amdhsa_exception_int_div_zero 0
	.end_amdhsa_kernel
	.text
.Lfunc_end0:
	.size	fft_rtc_fwd_len168_factors_2_6_7_2_wgs_140_tpt_14_dim2_sp_ip_CI_sbcc_twdbase8_3step_dirReg, .Lfunc_end0-fft_rtc_fwd_len168_factors_2_6_7_2_wgs_140_tpt_14_dim2_sp_ip_CI_sbcc_twdbase8_3step_dirReg
                                        ; -- End function
	.section	.AMDGPU.csdata,"",@progbits
; Kernel info:
; codeLenInByte = 9596
; NumSgprs: 25
; NumVgprs: 97
; ScratchSize: 0
; MemoryBound: 0
; FloatMode: 240
; IeeeMode: 1
; LDSByteSize: 0 bytes/workgroup (compile time only)
; SGPRBlocks: 3
; VGPRBlocks: 12
; NumSGPRsForWavesPerEU: 25
; NumVGPRsForWavesPerEU: 97
; Occupancy: 12
; WaveLimiterHint : 1
; COMPUTE_PGM_RSRC2:SCRATCH_EN: 0
; COMPUTE_PGM_RSRC2:USER_SGPR: 2
; COMPUTE_PGM_RSRC2:TRAP_HANDLER: 0
; COMPUTE_PGM_RSRC2:TGID_X_EN: 1
; COMPUTE_PGM_RSRC2:TGID_Y_EN: 0
; COMPUTE_PGM_RSRC2:TGID_Z_EN: 0
; COMPUTE_PGM_RSRC2:TIDIG_COMP_CNT: 0
	.text
	.p2alignl 7, 3214868480
	.fill 96, 4, 3214868480
	.type	__hip_cuid_5ba73cbd8c3182fc,@object ; @__hip_cuid_5ba73cbd8c3182fc
	.section	.bss,"aw",@nobits
	.globl	__hip_cuid_5ba73cbd8c3182fc
__hip_cuid_5ba73cbd8c3182fc:
	.byte	0                               ; 0x0
	.size	__hip_cuid_5ba73cbd8c3182fc, 1

	.ident	"AMD clang version 19.0.0git (https://github.com/RadeonOpenCompute/llvm-project roc-6.4.0 25133 c7fe45cf4b819c5991fe208aaa96edf142730f1d)"
	.section	".note.GNU-stack","",@progbits
	.addrsig
	.addrsig_sym __hip_cuid_5ba73cbd8c3182fc
	.amdgpu_metadata
---
amdhsa.kernels:
  - .args:
      - .actual_access:  read_only
        .address_space:  global
        .offset:         0
        .size:           8
        .value_kind:     global_buffer
      - .address_space:  global
        .offset:         8
        .size:           8
        .value_kind:     global_buffer
      - .actual_access:  read_only
        .address_space:  global
        .offset:         16
        .size:           8
        .value_kind:     global_buffer
      - .actual_access:  read_only
        .address_space:  global
        .offset:         24
        .size:           8
        .value_kind:     global_buffer
      - .offset:         32
        .size:           8
        .value_kind:     by_value
      - .actual_access:  read_only
        .address_space:  global
        .offset:         40
        .size:           8
        .value_kind:     global_buffer
      - .actual_access:  read_only
        .address_space:  global
        .offset:         48
        .size:           8
        .value_kind:     global_buffer
      - .offset:         56
        .size:           4
        .value_kind:     by_value
      - .actual_access:  read_only
        .address_space:  global
        .offset:         64
        .size:           8
        .value_kind:     global_buffer
      - .actual_access:  read_only
        .address_space:  global
        .offset:         72
        .size:           8
        .value_kind:     global_buffer
      - .address_space:  global
        .offset:         80
        .size:           8
        .value_kind:     global_buffer
    .group_segment_fixed_size: 0
    .kernarg_segment_align: 8
    .kernarg_segment_size: 88
    .language:       OpenCL C
    .language_version:
      - 2
      - 0
    .max_flat_workgroup_size: 140
    .name:           fft_rtc_fwd_len168_factors_2_6_7_2_wgs_140_tpt_14_dim2_sp_ip_CI_sbcc_twdbase8_3step_dirReg
    .private_segment_fixed_size: 0
    .sgpr_count:     25
    .sgpr_spill_count: 0
    .symbol:         fft_rtc_fwd_len168_factors_2_6_7_2_wgs_140_tpt_14_dim2_sp_ip_CI_sbcc_twdbase8_3step_dirReg.kd
    .uniform_work_group_size: 1
    .uses_dynamic_stack: false
    .vgpr_count:     97
    .vgpr_spill_count: 0
    .wavefront_size: 32
    .workgroup_processor_mode: 1
amdhsa.target:   amdgcn-amd-amdhsa--gfx1201
amdhsa.version:
  - 1
  - 2
...

	.end_amdgpu_metadata
